;; amdgpu-corpus repo=ROCm/rocFFT kind=compiled arch=gfx906 opt=O3
	.text
	.amdgcn_target "amdgcn-amd-amdhsa--gfx906"
	.amdhsa_code_object_version 6
	.protected	fft_rtc_fwd_len3200_factors_10_10_4_4_2_wgs_160_tpt_160_halfLds_sp_ip_CI_unitstride_sbrr_dirReg ; -- Begin function fft_rtc_fwd_len3200_factors_10_10_4_4_2_wgs_160_tpt_160_halfLds_sp_ip_CI_unitstride_sbrr_dirReg
	.globl	fft_rtc_fwd_len3200_factors_10_10_4_4_2_wgs_160_tpt_160_halfLds_sp_ip_CI_unitstride_sbrr_dirReg
	.p2align	8
	.type	fft_rtc_fwd_len3200_factors_10_10_4_4_2_wgs_160_tpt_160_halfLds_sp_ip_CI_unitstride_sbrr_dirReg,@function
fft_rtc_fwd_len3200_factors_10_10_4_4_2_wgs_160_tpt_160_halfLds_sp_ip_CI_unitstride_sbrr_dirReg: ; @fft_rtc_fwd_len3200_factors_10_10_4_4_2_wgs_160_tpt_160_halfLds_sp_ip_CI_unitstride_sbrr_dirReg
; %bb.0:
	s_load_dwordx2 s[2:3], s[4:5], 0x50
	s_load_dwordx4 s[8:11], s[4:5], 0x0
	s_load_dwordx2 s[12:13], s[4:5], 0x18
	v_mul_u32_u24_e32 v1, 0x19a, v0
	v_add_u32_sdwa v5, s6, v1 dst_sel:DWORD dst_unused:UNUSED_PAD src0_sel:DWORD src1_sel:WORD_1
	v_mov_b32_e32 v3, 0
	s_waitcnt lgkmcnt(0)
	v_cmp_lt_u64_e64 s[0:1], s[10:11], 2
	v_mov_b32_e32 v1, 0
	v_mov_b32_e32 v6, v3
	s_and_b64 vcc, exec, s[0:1]
	v_mov_b32_e32 v2, 0
	s_cbranch_vccnz .LBB0_8
; %bb.1:
	s_load_dwordx2 s[0:1], s[4:5], 0x10
	s_add_u32 s6, s12, 8
	s_addc_u32 s7, s13, 0
	v_mov_b32_e32 v1, 0
	v_mov_b32_e32 v2, 0
	s_waitcnt lgkmcnt(0)
	s_add_u32 s14, s0, 8
	s_addc_u32 s15, s1, 0
	s_mov_b64 s[16:17], 1
.LBB0_2:                                ; =>This Inner Loop Header: Depth=1
	s_load_dwordx2 s[18:19], s[14:15], 0x0
                                        ; implicit-def: $vgpr7_vgpr8
	s_waitcnt lgkmcnt(0)
	v_or_b32_e32 v4, s19, v6
	v_cmp_ne_u64_e32 vcc, 0, v[3:4]
	s_and_saveexec_b64 s[0:1], vcc
	s_xor_b64 s[20:21], exec, s[0:1]
	s_cbranch_execz .LBB0_4
; %bb.3:                                ;   in Loop: Header=BB0_2 Depth=1
	v_cvt_f32_u32_e32 v4, s18
	v_cvt_f32_u32_e32 v7, s19
	s_sub_u32 s0, 0, s18
	s_subb_u32 s1, 0, s19
	v_mac_f32_e32 v4, 0x4f800000, v7
	v_rcp_f32_e32 v4, v4
	v_mul_f32_e32 v4, 0x5f7ffffc, v4
	v_mul_f32_e32 v7, 0x2f800000, v4
	v_trunc_f32_e32 v7, v7
	v_mac_f32_e32 v4, 0xcf800000, v7
	v_cvt_u32_f32_e32 v7, v7
	v_cvt_u32_f32_e32 v4, v4
	v_mul_lo_u32 v8, s0, v7
	v_mul_hi_u32 v9, s0, v4
	v_mul_lo_u32 v11, s1, v4
	v_mul_lo_u32 v10, s0, v4
	v_add_u32_e32 v8, v9, v8
	v_add_u32_e32 v8, v8, v11
	v_mul_hi_u32 v9, v4, v10
	v_mul_lo_u32 v11, v4, v8
	v_mul_hi_u32 v13, v4, v8
	v_mul_hi_u32 v12, v7, v10
	v_mul_lo_u32 v10, v7, v10
	v_mul_hi_u32 v14, v7, v8
	v_add_co_u32_e32 v9, vcc, v9, v11
	v_addc_co_u32_e32 v11, vcc, 0, v13, vcc
	v_mul_lo_u32 v8, v7, v8
	v_add_co_u32_e32 v9, vcc, v9, v10
	v_addc_co_u32_e32 v9, vcc, v11, v12, vcc
	v_addc_co_u32_e32 v10, vcc, 0, v14, vcc
	v_add_co_u32_e32 v8, vcc, v9, v8
	v_addc_co_u32_e32 v9, vcc, 0, v10, vcc
	v_add_co_u32_e32 v4, vcc, v4, v8
	v_addc_co_u32_e32 v7, vcc, v7, v9, vcc
	v_mul_lo_u32 v8, s0, v7
	v_mul_hi_u32 v9, s0, v4
	v_mul_lo_u32 v10, s1, v4
	v_mul_lo_u32 v11, s0, v4
	v_add_u32_e32 v8, v9, v8
	v_add_u32_e32 v8, v8, v10
	v_mul_lo_u32 v12, v4, v8
	v_mul_hi_u32 v13, v4, v11
	v_mul_hi_u32 v14, v4, v8
	;; [unrolled: 1-line block ×3, first 2 shown]
	v_mul_lo_u32 v11, v7, v11
	v_mul_hi_u32 v9, v7, v8
	v_add_co_u32_e32 v12, vcc, v13, v12
	v_addc_co_u32_e32 v13, vcc, 0, v14, vcc
	v_mul_lo_u32 v8, v7, v8
	v_add_co_u32_e32 v11, vcc, v12, v11
	v_addc_co_u32_e32 v10, vcc, v13, v10, vcc
	v_addc_co_u32_e32 v9, vcc, 0, v9, vcc
	v_add_co_u32_e32 v8, vcc, v10, v8
	v_addc_co_u32_e32 v9, vcc, 0, v9, vcc
	v_add_co_u32_e32 v4, vcc, v4, v8
	v_addc_co_u32_e32 v9, vcc, v7, v9, vcc
	v_mad_u64_u32 v[7:8], s[0:1], v5, v9, 0
	v_mul_hi_u32 v10, v5, v4
	v_add_co_u32_e32 v11, vcc, v10, v7
	v_addc_co_u32_e32 v12, vcc, 0, v8, vcc
	v_mad_u64_u32 v[7:8], s[0:1], v6, v4, 0
	v_mad_u64_u32 v[9:10], s[0:1], v6, v9, 0
	v_add_co_u32_e32 v4, vcc, v11, v7
	v_addc_co_u32_e32 v4, vcc, v12, v8, vcc
	v_addc_co_u32_e32 v7, vcc, 0, v10, vcc
	v_add_co_u32_e32 v4, vcc, v4, v9
	v_addc_co_u32_e32 v9, vcc, 0, v7, vcc
	v_mul_lo_u32 v10, s19, v4
	v_mul_lo_u32 v11, s18, v9
	v_mad_u64_u32 v[7:8], s[0:1], s18, v4, 0
	v_add3_u32 v8, v8, v11, v10
	v_sub_u32_e32 v10, v6, v8
	v_mov_b32_e32 v11, s19
	v_sub_co_u32_e32 v7, vcc, v5, v7
	v_subb_co_u32_e64 v10, s[0:1], v10, v11, vcc
	v_subrev_co_u32_e64 v11, s[0:1], s18, v7
	v_subbrev_co_u32_e64 v10, s[0:1], 0, v10, s[0:1]
	v_cmp_le_u32_e64 s[0:1], s19, v10
	v_cndmask_b32_e64 v12, 0, -1, s[0:1]
	v_cmp_le_u32_e64 s[0:1], s18, v11
	v_cndmask_b32_e64 v11, 0, -1, s[0:1]
	v_cmp_eq_u32_e64 s[0:1], s19, v10
	v_cndmask_b32_e64 v10, v12, v11, s[0:1]
	v_add_co_u32_e64 v11, s[0:1], 2, v4
	v_addc_co_u32_e64 v12, s[0:1], 0, v9, s[0:1]
	v_add_co_u32_e64 v13, s[0:1], 1, v4
	v_addc_co_u32_e64 v14, s[0:1], 0, v9, s[0:1]
	v_subb_co_u32_e32 v8, vcc, v6, v8, vcc
	v_cmp_ne_u32_e64 s[0:1], 0, v10
	v_cmp_le_u32_e32 vcc, s19, v8
	v_cndmask_b32_e64 v10, v14, v12, s[0:1]
	v_cndmask_b32_e64 v12, 0, -1, vcc
	v_cmp_le_u32_e32 vcc, s18, v7
	v_cndmask_b32_e64 v7, 0, -1, vcc
	v_cmp_eq_u32_e32 vcc, s19, v8
	v_cndmask_b32_e32 v7, v12, v7, vcc
	v_cmp_ne_u32_e32 vcc, 0, v7
	v_cndmask_b32_e64 v7, v13, v11, s[0:1]
	v_cndmask_b32_e32 v8, v9, v10, vcc
	v_cndmask_b32_e32 v7, v4, v7, vcc
.LBB0_4:                                ;   in Loop: Header=BB0_2 Depth=1
	s_andn2_saveexec_b64 s[0:1], s[20:21]
	s_cbranch_execz .LBB0_6
; %bb.5:                                ;   in Loop: Header=BB0_2 Depth=1
	v_cvt_f32_u32_e32 v4, s18
	s_sub_i32 s20, 0, s18
	v_rcp_iflag_f32_e32 v4, v4
	v_mul_f32_e32 v4, 0x4f7ffffe, v4
	v_cvt_u32_f32_e32 v4, v4
	v_mul_lo_u32 v7, s20, v4
	v_mul_hi_u32 v7, v4, v7
	v_add_u32_e32 v4, v4, v7
	v_mul_hi_u32 v4, v5, v4
	v_mul_lo_u32 v7, v4, s18
	v_add_u32_e32 v8, 1, v4
	v_sub_u32_e32 v7, v5, v7
	v_subrev_u32_e32 v9, s18, v7
	v_cmp_le_u32_e32 vcc, s18, v7
	v_cndmask_b32_e32 v7, v7, v9, vcc
	v_cndmask_b32_e32 v4, v4, v8, vcc
	v_add_u32_e32 v8, 1, v4
	v_cmp_le_u32_e32 vcc, s18, v7
	v_cndmask_b32_e32 v7, v4, v8, vcc
	v_mov_b32_e32 v8, v3
.LBB0_6:                                ;   in Loop: Header=BB0_2 Depth=1
	s_or_b64 exec, exec, s[0:1]
	v_mul_lo_u32 v4, v8, s18
	v_mul_lo_u32 v11, v7, s19
	v_mad_u64_u32 v[9:10], s[0:1], v7, s18, 0
	s_load_dwordx2 s[0:1], s[6:7], 0x0
	s_add_u32 s16, s16, 1
	v_add3_u32 v4, v10, v11, v4
	v_sub_co_u32_e32 v5, vcc, v5, v9
	v_subb_co_u32_e32 v4, vcc, v6, v4, vcc
	s_waitcnt lgkmcnt(0)
	v_mul_lo_u32 v4, s0, v4
	v_mul_lo_u32 v6, s1, v5
	v_mad_u64_u32 v[1:2], s[0:1], s0, v5, v[1:2]
	s_addc_u32 s17, s17, 0
	s_add_u32 s6, s6, 8
	v_add3_u32 v2, v6, v2, v4
	v_mov_b32_e32 v4, s10
	v_mov_b32_e32 v5, s11
	s_addc_u32 s7, s7, 0
	v_cmp_ge_u64_e32 vcc, s[16:17], v[4:5]
	s_add_u32 s14, s14, 8
	s_addc_u32 s15, s15, 0
	s_cbranch_vccnz .LBB0_9
; %bb.7:                                ;   in Loop: Header=BB0_2 Depth=1
	v_mov_b32_e32 v5, v7
	v_mov_b32_e32 v6, v8
	s_branch .LBB0_2
.LBB0_8:
	v_mov_b32_e32 v8, v6
	v_mov_b32_e32 v7, v5
.LBB0_9:
	s_lshl_b64 s[0:1], s[10:11], 3
	s_add_u32 s0, s12, s0
	s_addc_u32 s1, s13, s1
	s_load_dwordx2 s[6:7], s[0:1], 0x0
	s_load_dwordx2 s[10:11], s[4:5], 0x20
	s_waitcnt lgkmcnt(0)
	v_mad_u64_u32 v[1:2], s[0:1], s6, v7, v[1:2]
	s_mov_b32 s0, 0x199999a
	v_mul_lo_u32 v3, s6, v8
	v_mul_lo_u32 v4, s7, v7
	v_mul_hi_u32 v5, v0, s0
	v_cmp_gt_u64_e64 s[0:1], s[10:11], v[7:8]
	v_cmp_le_u64_e32 vcc, s[10:11], v[7:8]
	v_add3_u32 v2, v4, v2, v3
	v_mul_u32_u24_e32 v3, 0xa0, v5
	v_sub_u32_e32 v0, v0, v3
                                        ; implicit-def: $vgpr4
	s_and_saveexec_b64 s[4:5], vcc
	s_xor_b64 s[4:5], exec, s[4:5]
; %bb.10:
	v_or_b32_e32 v4, 0x500, v0
; %bb.11:
	s_or_saveexec_b64 s[4:5], s[4:5]
	v_lshlrev_b64 v[2:3], 3, v[1:2]
                                        ; implicit-def: $vgpr11
                                        ; implicit-def: $vgpr8
                                        ; implicit-def: $vgpr37
                                        ; implicit-def: $vgpr39
                                        ; implicit-def: $vgpr13
                                        ; implicit-def: $vgpr41
                                        ; implicit-def: $vgpr46
                                        ; implicit-def: $vgpr35
                                        ; implicit-def: $vgpr19
                                        ; implicit-def: $vgpr29
                                        ; implicit-def: $vgpr25
                                        ; implicit-def: $vgpr44
                                        ; implicit-def: $vgpr31
                                        ; implicit-def: $vgpr23
                                        ; implicit-def: $vgpr33
                                        ; implicit-def: $vgpr27
                                        ; implicit-def: $vgpr21
                                        ; implicit-def: $vgpr6
                                        ; implicit-def: $vgpr17
                                        ; implicit-def: $vgpr15
	s_xor_b64 exec, exec, s[4:5]
	s_cbranch_execz .LBB0_13
; %bb.12:
	v_mov_b32_e32 v1, 0
	v_mov_b32_e32 v4, s3
	v_add_co_u32_e32 v7, vcc, s2, v2
	v_addc_co_u32_e32 v8, vcc, v4, v3, vcc
	v_lshlrev_b64 v[4:5], 3, v[0:1]
	s_movk_i32 s6, 0x1000
	v_add_co_u32_e32 v22, vcc, v7, v4
	v_addc_co_u32_e32 v23, vcc, v8, v5, vcc
	v_or_b32_e32 v4, 0x500, v0
	v_mov_b32_e32 v5, v1
	v_add_co_u32_e32 v24, vcc, s6, v22
	v_lshlrev_b64 v[5:6], 3, v[4:5]
	v_addc_co_u32_e32 v25, vcc, 0, v23, vcc
	v_add_co_u32_e32 v26, vcc, v7, v5
	v_addc_co_u32_e32 v27, vcc, v8, v6, vcc
	s_movk_i32 s6, 0x3000
	v_or_b32_e32 v5, 0xa00, v0
	v_mov_b32_e32 v6, v1
	v_add_co_u32_e32 v34, vcc, s6, v22
	v_lshlrev_b64 v[5:6], 3, v[5:6]
	v_addc_co_u32_e32 v35, vcc, 0, v23, vcc
	v_add_co_u32_e32 v42, vcc, v7, v5
	s_movk_i32 s6, 0x4000
	v_addc_co_u32_e32 v43, vcc, v8, v6, vcc
	v_add_co_u32_e32 v47, vcc, s6, v22
	v_addc_co_u32_e32 v48, vcc, 0, v23, vcc
	s_movk_i32 s6, 0x5000
	v_add_co_u32_e32 v49, vcc, s6, v22
	v_addc_co_u32_e32 v50, vcc, 0, v23, vcc
	s_movk_i32 s6, 0x2000
	v_add_co_u32_e32 v51, vcc, s6, v22
	v_addc_co_u32_e32 v52, vcc, 0, v23, vcc
	global_load_dwordx2 v[10:11], v[22:23], off
	global_load_dwordx2 v[5:6], v[22:23], off offset:3840
	global_load_dwordx2 v[7:8], v[22:23], off offset:2560
	;; [unrolled: 1-line block ×4, first 2 shown]
	global_load_dwordx2 v[38:39], v[26:27], off
	global_load_dwordx2 v[14:15], v[24:25], off offset:3584
	global_load_dwordx2 v[28:29], v[24:25], off offset:2304
	;; [unrolled: 1-line block ×8, first 2 shown]
	global_load_dwordx2 v[45:46], v[42:43], off
                                        ; kill: killed $vgpr34 killed $vgpr35
                                        ; kill: killed $vgpr22 killed $vgpr23
                                        ; kill: killed $vgpr26 killed $vgpr27
                                        ; kill: killed $vgpr24 killed $vgpr25
                                        ; kill: killed $vgpr42 killed $vgpr43
	global_load_dwordx2 v[22:23], v[47:48], off offset:2816
	s_nop 0
	global_load_dwordx2 v[34:35], v[49:50], off offset:2560
	global_load_dwordx2 v[43:44], v[51:52], off offset:3328
	;; [unrolled: 1-line block ×4, first 2 shown]
.LBB0_13:
	s_or_b64 exec, exec, s[4:5]
	s_waitcnt vmcnt(9)
	v_add_f32_e32 v9, v38, v40
	v_fma_f32 v9, -0.5, v9, v10
	s_waitcnt vmcnt(5)
	v_sub_f32_e32 v42, v37, v46
	v_mov_b32_e32 v47, v9
	v_fmac_f32_e32 v47, 0x3f737871, v42
	v_sub_f32_e32 v48, v39, v41
	v_sub_f32_e32 v49, v36, v38
	;; [unrolled: 1-line block ×3, first 2 shown]
	v_fmac_f32_e32 v9, 0xbf737871, v42
	v_fmac_f32_e32 v47, 0x3f167918, v48
	v_add_f32_e32 v49, v49, v50
	v_fmac_f32_e32 v9, 0xbf167918, v48
	v_fmac_f32_e32 v47, 0x3e9e377a, v49
	;; [unrolled: 1-line block ×3, first 2 shown]
	v_add_f32_e32 v49, v36, v45
	v_add_f32_e32 v1, v10, v36
	v_fmac_f32_e32 v10, -0.5, v49
	v_mov_b32_e32 v49, v10
	v_fmac_f32_e32 v49, 0xbf737871, v48
	v_fmac_f32_e32 v10, 0x3f737871, v48
	;; [unrolled: 1-line block ×4, first 2 shown]
	v_add_f32_e32 v42, v11, v37
	v_add_f32_e32 v42, v42, v39
	v_sub_f32_e32 v50, v38, v36
	v_sub_f32_e32 v51, v40, v45
	v_add_f32_e32 v42, v42, v41
	v_add_f32_e32 v50, v50, v51
	;; [unrolled: 1-line block ×4, first 2 shown]
	v_fmac_f32_e32 v49, 0x3e9e377a, v50
	v_fmac_f32_e32 v10, 0x3e9e377a, v50
	v_fma_f32 v50, -0.5, v42, v11
	v_add_f32_e32 v1, v1, v38
	v_sub_f32_e32 v36, v36, v45
	v_mov_b32_e32 v51, v50
	v_add_f32_e32 v1, v1, v40
	v_fmac_f32_e32 v51, 0xbf737871, v36
	v_sub_f32_e32 v38, v38, v40
	v_sub_f32_e32 v40, v37, v39
	;; [unrolled: 1-line block ×3, first 2 shown]
	v_fmac_f32_e32 v50, 0x3f737871, v36
	v_fmac_f32_e32 v51, 0xbf167918, v38
	v_add_f32_e32 v40, v40, v42
	v_fmac_f32_e32 v50, 0x3f167918, v38
	v_fmac_f32_e32 v51, 0x3e9e377a, v40
	;; [unrolled: 1-line block ×3, first 2 shown]
	v_add_f32_e32 v40, v37, v46
	v_fmac_f32_e32 v11, -0.5, v40
	v_mov_b32_e32 v52, v11
	v_fmac_f32_e32 v52, 0x3f737871, v38
	v_fmac_f32_e32 v11, 0xbf737871, v38
	;; [unrolled: 1-line block ×4, first 2 shown]
	v_add_f32_e32 v36, v7, v14
	v_add_f32_e32 v36, v12, v36
	;; [unrolled: 1-line block ×3, first 2 shown]
	v_sub_f32_e32 v37, v39, v37
	v_sub_f32_e32 v39, v41, v46
	s_waitcnt vmcnt(3)
	v_add_f32_e32 v38, v34, v36
	v_add_f32_e32 v36, v12, v16
	;; [unrolled: 1-line block ×3, first 2 shown]
	v_fma_f32 v39, -0.5, v36, v7
	v_sub_f32_e32 v36, v15, v35
	v_mov_b32_e32 v40, v39
	v_fmac_f32_e32 v52, 0x3e9e377a, v37
	v_fmac_f32_e32 v11, 0x3e9e377a, v37
	;; [unrolled: 1-line block ×3, first 2 shown]
	v_sub_f32_e32 v37, v13, v17
	v_sub_f32_e32 v41, v14, v12
	;; [unrolled: 1-line block ×3, first 2 shown]
	v_fmac_f32_e32 v39, 0xbf737871, v36
	v_fmac_f32_e32 v40, 0x3f167918, v37
	v_add_f32_e32 v41, v42, v41
	v_fmac_f32_e32 v39, 0xbf167918, v37
	v_fmac_f32_e32 v40, 0x3e9e377a, v41
	;; [unrolled: 1-line block ×3, first 2 shown]
	v_add_f32_e32 v41, v34, v14
	v_fmac_f32_e32 v7, -0.5, v41
	v_mov_b32_e32 v41, v7
	v_fmac_f32_e32 v41, 0xbf737871, v37
	v_fmac_f32_e32 v7, 0x3f737871, v37
	;; [unrolled: 1-line block ×4, first 2 shown]
	v_add_f32_e32 v36, v8, v15
	v_add_f32_e32 v36, v13, v36
	;; [unrolled: 1-line block ×3, first 2 shown]
	v_sub_f32_e32 v42, v12, v14
	v_sub_f32_e32 v45, v16, v34
	v_add_f32_e32 v36, v17, v36
	v_add_f32_e32 v42, v45, v42
	v_add_f32_e32 v53, v35, v36
	v_add_f32_e32 v36, v13, v17
	v_fmac_f32_e32 v41, 0x3e9e377a, v42
	v_fmac_f32_e32 v7, 0x3e9e377a, v42
	v_fma_f32 v42, -0.5, v36, v8
	v_sub_f32_e32 v14, v14, v34
	v_mov_b32_e32 v34, v42
	v_fmac_f32_e32 v34, 0xbf737871, v14
	v_sub_f32_e32 v12, v12, v16
	v_sub_f32_e32 v16, v15, v13
	;; [unrolled: 1-line block ×3, first 2 shown]
	v_fmac_f32_e32 v42, 0x3f737871, v14
	v_fmac_f32_e32 v34, 0xbf167918, v12
	v_add_f32_e32 v16, v36, v16
	v_fmac_f32_e32 v42, 0x3f167918, v12
	v_fmac_f32_e32 v34, 0x3e9e377a, v16
	;; [unrolled: 1-line block ×3, first 2 shown]
	v_add_f32_e32 v16, v35, v15
	v_fmac_f32_e32 v8, -0.5, v16
	v_mov_b32_e32 v16, v8
	v_fmac_f32_e32 v16, 0x3f737871, v12
	v_sub_f32_e32 v13, v13, v15
	v_sub_f32_e32 v15, v17, v35
	v_fmac_f32_e32 v8, 0xbf737871, v12
	v_fmac_f32_e32 v16, 0xbf167918, v14
	v_add_f32_e32 v13, v15, v13
	v_fmac_f32_e32 v8, 0x3f167918, v14
	s_mov_b32 s4, 0x3f737871
	v_fmac_f32_e32 v16, 0x3e9e377a, v13
	v_fmac_f32_e32 v8, 0x3e9e377a, v13
	v_mul_f32_e32 v17, 0x3e9e377a, v41
	v_mul_f32_e32 v13, 0x3e9e377a, v7
	s_mov_b32 s7, 0xbf737871
	v_mul_f32_e32 v12, 0x3f167918, v34
	v_fmac_f32_e32 v17, 0x3f737871, v16
	v_fma_f32 v54, v8, s4, -v13
	v_mul_f32_e32 v8, 0x3e9e377a, v8
	s_mov_b32 s6, 0xbf167918
	v_fmac_f32_e32 v12, 0x3f4f1bbd, v40
	v_add_f32_e32 v45, v49, v17
	v_mul_f32_e32 v56, 0xbf167918, v40
	v_fma_f32 v57, v7, s7, -v8
	v_mul_f32_e32 v7, 0x3f4f1bbd, v42
	v_sub_f32_e32 v40, v49, v17
	s_waitcnt vmcnt(2)
	v_add_f32_e32 v17, v43, v30
	s_mov_b32 s5, 0x3f167918
	v_add_f32_e32 v36, v47, v12
	v_mul_f32_e32 v13, 0x3f4f1bbd, v39
	v_fmac_f32_e32 v56, 0x3f4f1bbd, v34
	v_mul_f32_e32 v34, 0xbf737871, v41
	v_fma_f32 v58, v39, s6, -v7
	v_sub_f32_e32 v39, v47, v12
	v_fma_f32 v47, -0.5, v17, v18
	v_fma_f32 v55, v42, s5, -v13
	v_add_f32_e32 v13, v48, v53
	v_fmac_f32_e32 v34, 0x3e9e377a, v16
	v_sub_f32_e32 v8, v48, v53
	v_sub_f32_e32 v17, v29, v33
	v_mov_b32_e32 v48, v47
	v_add_f32_e32 v46, v10, v54
	v_add_f32_e32 v15, v52, v34
	;; [unrolled: 1-line block ×3, first 2 shown]
	v_sub_f32_e32 v41, v10, v54
	v_sub_f32_e32 v10, v52, v34
	;; [unrolled: 1-line block ×3, first 2 shown]
	v_fmac_f32_e32 v48, 0x3f737871, v17
	v_sub_f32_e32 v34, v44, v31
	v_sub_f32_e32 v49, v28, v43
	;; [unrolled: 1-line block ×3, first 2 shown]
	v_fmac_f32_e32 v47, 0xbf737871, v17
	v_fmac_f32_e32 v48, 0x3f167918, v34
	v_add_f32_e32 v49, v49, v50
	v_fmac_f32_e32 v47, 0xbf167918, v34
	v_fmac_f32_e32 v48, 0x3e9e377a, v49
	;; [unrolled: 1-line block ×3, first 2 shown]
	v_add_f32_e32 v49, v28, v32
	v_add_f32_e32 v35, v1, v38
	v_sub_f32_e32 v38, v1, v38
	v_add_f32_e32 v1, v18, v28
	v_fmac_f32_e32 v18, -0.5, v49
	v_mov_b32_e32 v49, v18
	v_fmac_f32_e32 v49, 0xbf737871, v34
	v_fmac_f32_e32 v18, 0x3f737871, v34
	;; [unrolled: 1-line block ×4, first 2 shown]
	v_add_f32_e32 v17, v19, v29
	v_add_f32_e32 v37, v9, v55
	;; [unrolled: 1-line block ×3, first 2 shown]
	v_sub_f32_e32 v42, v9, v55
	v_sub_f32_e32 v9, v51, v56
	;; [unrolled: 1-line block ×4, first 2 shown]
	v_add_f32_e32 v17, v17, v44
	v_add_f32_e32 v50, v50, v51
	;; [unrolled: 1-line block ×3, first 2 shown]
	v_fmac_f32_e32 v49, 0x3e9e377a, v50
	v_fmac_f32_e32 v18, 0x3e9e377a, v50
	v_add_f32_e32 v50, v17, v33
	v_add_f32_e32 v17, v44, v31
	;; [unrolled: 1-line block ×3, first 2 shown]
	v_fma_f32 v51, -0.5, v17, v19
	v_add_f32_e32 v1, v1, v30
	v_sub_f32_e32 v17, v28, v32
	v_mov_b32_e32 v52, v51
	v_add_f32_e32 v1, v1, v32
	v_fmac_f32_e32 v52, 0xbf737871, v17
	v_sub_f32_e32 v28, v43, v30
	v_sub_f32_e32 v30, v29, v44
	v_sub_f32_e32 v32, v33, v31
	v_fmac_f32_e32 v51, 0x3f737871, v17
	v_fmac_f32_e32 v52, 0xbf167918, v28
	v_add_f32_e32 v30, v30, v32
	v_fmac_f32_e32 v51, 0x3f167918, v28
	v_fmac_f32_e32 v52, 0x3e9e377a, v30
	;; [unrolled: 1-line block ×3, first 2 shown]
	v_add_f32_e32 v30, v29, v33
	v_fmac_f32_e32 v19, -0.5, v30
	v_mov_b32_e32 v43, v19
	v_fmac_f32_e32 v43, 0x3f737871, v28
	v_fmac_f32_e32 v19, 0xbf737871, v28
	;; [unrolled: 1-line block ×4, first 2 shown]
	s_waitcnt vmcnt(1)
	v_add_f32_e32 v17, v24, v5
	v_add_f32_e32 v17, v20, v17
	v_add_f32_e32 v17, v22, v17
	v_sub_f32_e32 v29, v44, v29
	v_sub_f32_e32 v30, v31, v33
	s_waitcnt vmcnt(0)
	v_add_f32_e32 v28, v26, v17
	v_add_f32_e32 v17, v22, v20
	v_add_f32_e32 v29, v29, v30
	v_fma_f32 v17, -0.5, v17, v5
	v_fmac_f32_e32 v43, 0x3e9e377a, v29
	v_fmac_f32_e32 v19, 0x3e9e377a, v29
	v_sub_f32_e32 v29, v25, v27
	v_mov_b32_e32 v30, v17
	v_fmac_f32_e32 v30, 0x3f737871, v29
	v_sub_f32_e32 v31, v21, v23
	v_sub_f32_e32 v32, v24, v20
	;; [unrolled: 1-line block ×3, first 2 shown]
	v_fmac_f32_e32 v17, 0xbf737871, v29
	v_fmac_f32_e32 v30, 0x3f167918, v31
	v_add_f32_e32 v32, v33, v32
	v_fmac_f32_e32 v17, 0xbf167918, v31
	v_fmac_f32_e32 v30, 0x3e9e377a, v32
	;; [unrolled: 1-line block ×3, first 2 shown]
	v_add_f32_e32 v32, v24, v26
	v_fmac_f32_e32 v5, -0.5, v32
	v_mov_b32_e32 v44, v5
	v_fmac_f32_e32 v44, 0xbf737871, v31
	v_fmac_f32_e32 v5, 0x3f737871, v31
	;; [unrolled: 1-line block ×4, first 2 shown]
	v_add_f32_e32 v29, v25, v6
	v_add_f32_e32 v29, v21, v29
	;; [unrolled: 1-line block ×5, first 2 shown]
	v_fma_f32 v29, -0.5, v29, v6
	v_sub_f32_e32 v32, v20, v24
	v_sub_f32_e32 v33, v22, v26
	;; [unrolled: 1-line block ×3, first 2 shown]
	v_mov_b32_e32 v26, v29
	v_fmac_f32_e32 v26, 0xbf737871, v24
	v_sub_f32_e32 v20, v20, v22
	v_sub_f32_e32 v22, v25, v21
	;; [unrolled: 1-line block ×3, first 2 shown]
	v_fmac_f32_e32 v29, 0x3f737871, v24
	v_fmac_f32_e32 v26, 0xbf167918, v20
	v_add_f32_e32 v22, v31, v22
	v_fmac_f32_e32 v29, 0x3f167918, v20
	v_fmac_f32_e32 v26, 0x3e9e377a, v22
	;; [unrolled: 1-line block ×3, first 2 shown]
	v_add_f32_e32 v22, v25, v27
	v_fmac_f32_e32 v6, -0.5, v22
	v_mov_b32_e32 v22, v6
	v_add_f32_e32 v32, v33, v32
	v_fmac_f32_e32 v22, 0x3f737871, v20
	v_sub_f32_e32 v21, v21, v25
	v_sub_f32_e32 v23, v23, v27
	v_fmac_f32_e32 v6, 0xbf737871, v20
	v_fmac_f32_e32 v44, 0x3e9e377a, v32
	;; [unrolled: 1-line block ×3, first 2 shown]
	v_add_f32_e32 v21, v23, v21
	v_fmac_f32_e32 v6, 0x3f167918, v24
	v_fmac_f32_e32 v5, 0x3e9e377a, v32
	;; [unrolled: 1-line block ×4, first 2 shown]
	v_mul_f32_e32 v21, 0x3e9e377a, v44
	v_mul_f32_e32 v44, 0xbf737871, v44
	v_add_f32_e32 v31, v1, v28
	v_mul_f32_e32 v23, 0x3e9e377a, v5
	v_fmac_f32_e32 v44, 0x3e9e377a, v22
	v_sub_f32_e32 v28, v1, v28
	v_mul_u32_u24_e32 v1, 10, v0
	v_mul_f32_e32 v20, 0x3f4f1bbd, v30
	v_fmac_f32_e32 v21, 0x3f737871, v22
	v_fma_f32 v54, v6, s4, -v23
	v_mul_f32_e32 v23, 0x3f4f1bbd, v17
	v_add_f32_e32 v25, v43, v44
	v_mul_f32_e32 v6, 0x3e9e377a, v6
	v_sub_f32_e32 v22, v43, v44
	v_lshl_add_u32 v43, v1, 2, 0
	s_movk_i32 s10, 0xffdc
	v_add_f32_e32 v16, v11, v57
	v_sub_f32_e32 v11, v11, v57
	v_fmac_f32_e32 v20, 0x3f167918, v26
	v_fma_f32 v55, v29, s5, -v23
	v_mul_f32_e32 v56, 0xbf167918, v30
	v_fma_f32 v57, v5, s7, -v6
	v_mul_f32_e32 v5, 0x3f4f1bbd, v29
	ds_write2_b64 v43, v[35:36], v[45:46] offset1:1
	ds_write2_b64 v43, v[37:38], v[39:40] offset0:2 offset1:3
	ds_write_b64 v43, v[41:42] offset:32
	v_mad_i32_i24 v37, v0, s10, v43
	v_add_f32_e32 v32, v48, v20
	v_add_f32_e32 v33, v49, v21
	;; [unrolled: 1-line block ×5, first 2 shown]
	v_fmac_f32_e32 v56, 0x3f4f1bbd, v26
	v_fma_f32 v58, v17, s6, -v5
	v_sub_f32_e32 v29, v48, v20
	v_sub_f32_e32 v30, v49, v21
	;; [unrolled: 1-line block ×5, first 2 shown]
	v_add_u32_e32 v44, 0x1900, v43
	v_add_u32_e32 v45, 0x1910, v43
	;; [unrolled: 1-line block ×10, first 2 shown]
	s_movk_i32 s10, 0xcd
	v_add_f32_e32 v24, v52, v56
	v_add_f32_e32 v26, v19, v57
	v_add_f32_e32 v17, v51, v58
	v_sub_f32_e32 v21, v52, v56
	v_sub_f32_e32 v19, v19, v57
	;; [unrolled: 1-line block ×3, first 2 shown]
	ds_write2_b64 v44, v[31:32], v[33:34] offset1:1
	ds_write2_b64 v45, v[27:28], v[29:30] offset1:1
	ds_write_b64 v43, v[5:6] offset:6432
	s_waitcnt lgkmcnt(0)
	s_barrier
	ds_read2_b32 v[5:6], v37 offset1:160
	ds_read2_b32 v[47:48], v50 offset0:64 offset1:224
	ds_read2_b32 v[63:64], v69 offset1:160
	ds_read2_b32 v[65:66], v1 offset0:64 offset1:224
	v_lshl_add_u32 v41, v4, 2, 0
	ds_read2_b32 v[29:30], v73 offset0:32 offset1:192
	ds_read2_b32 v[27:28], v38 offset0:32 offset1:192
	;; [unrolled: 1-line block ×5, first 2 shown]
	ds_read_b32 v79, v41
	ds_read_b32 v49, v37 offset:12160
	s_waitcnt lgkmcnt(0)
	s_barrier
	ds_write2_b64 v43, v[13:14], v[15:16] offset1:1
	ds_write2_b64 v43, v[7:8], v[9:10] offset0:2 offset1:3
	ds_write_b64 v43, v[11:12] offset:32
	ds_write2_b64 v44, v[23:24], v[25:26] offset1:1
	ds_write2_b64 v45, v[17:18], v[21:22] offset1:1
	ds_write_b64 v43, v[19:20] offset:6432
	v_mul_lo_u16_sdwa v7, v0, s10 dst_sel:DWORD dst_unused:UNUSED_PAD src0_sel:BYTE_0 src1_sel:DWORD
	v_lshrrev_b16_e32 v12, 11, v7
	v_mul_lo_u16_e32 v7, 10, v12
	v_sub_u16_e32 v11, v0, v7
	v_mov_b32_e32 v7, 9
	v_mul_u32_u24_sdwa v7, v11, v7 dst_sel:DWORD dst_unused:UNUSED_PAD src0_sel:BYTE_0 src1_sel:DWORD
	v_lshlrev_b32_e32 v26, 3, v7
	s_waitcnt lgkmcnt(0)
	s_barrier
	global_load_dwordx4 v[13:16], v26, s[8:9]
	v_add_u32_e32 v21, 0xa0, v0
	s_mov_b32 s10, 0xcccd
	v_mul_u32_u24_sdwa v7, v21, s10 dst_sel:DWORD dst_unused:UNUSED_PAD src0_sel:WORD_0 src1_sel:DWORD
	v_lshrrev_b32_e32 v9, 19, v7
	v_mul_lo_u16_e32 v7, 10, v9
	v_sub_u16_e32 v10, v21, v7
	v_mul_u32_u24_e32 v7, 9, v10
	v_lshlrev_b32_e32 v80, 3, v7
	global_load_dwordx4 v[17:20], v80, s[8:9]
	global_load_dwordx4 v[22:25], v26, s[8:9] offset:16
	global_load_dwordx4 v[43:46], v26, s[8:9] offset:32
	;; [unrolled: 1-line block ×3, first 2 shown]
	global_load_dwordx2 v[7:8], v26, s[8:9] offset:64
	global_load_dwordx4 v[55:58], v80, s[8:9] offset:16
	ds_read2_b32 v[67:68], v50 offset0:64 offset1:224
	global_load_dwordx4 v[59:62], v80, s[8:9] offset:32
	ds_read2_b32 v[69:70], v69 offset1:160
	ds_read2_b32 v[71:72], v1 offset0:64 offset1:224
	ds_read2_b32 v[73:74], v73 offset0:32 offset1:192
	;; [unrolled: 1-line block ×4, first 2 shown]
	v_mul_u32_u24_e32 v12, 0x190, v12
	s_waitcnt vmcnt(7) lgkmcnt(5)
	v_mul_f32_e32 v26, v67, v14
	v_mul_f32_e32 v81, v47, v14
	v_fma_f32 v26, v47, v13, -v26
	v_fmac_f32_e32 v81, v67, v13
	s_waitcnt lgkmcnt(4)
	v_mul_f32_e32 v13, v69, v16
	v_fma_f32 v82, v63, v15, -v13
	v_mul_f32_e32 v63, v63, v16
	s_waitcnt vmcnt(6)
	v_mul_f32_e32 v13, v68, v18
	v_fmac_f32_e32 v63, v69, v15
	v_fma_f32 v13, v48, v17, -v13
	v_mul_f32_e32 v14, v48, v18
	v_mul_f32_e32 v15, v70, v20
	;; [unrolled: 1-line block ×3, first 2 shown]
	v_fmac_f32_e32 v14, v68, v17
	ds_read2_b32 v[67:68], v40 offset0:32 offset1:192
	v_fma_f32 v50, v64, v19, -v15
	v_fmac_f32_e32 v48, v70, v19
	ds_read2_b32 v[19:20], v42 offset0:32 offset1:192
	ds_read_b32 v15, v41
	ds_read_b32 v64, v37 offset:12160
	s_waitcnt vmcnt(5) lgkmcnt(7)
	v_mul_f32_e32 v16, v71, v23
	v_fma_f32 v69, v65, v22, -v16
	v_mul_f32_e32 v65, v65, v23
	s_waitcnt lgkmcnt(1)
	v_mul_f32_e32 v16, v15, v25
	v_mul_f32_e32 v25, v79, v25
	v_fmac_f32_e32 v25, v15, v24
	s_waitcnt vmcnt(4)
	v_mul_f32_e32 v15, v74, v44
	v_fma_f32 v70, v79, v24, -v16
	v_fma_f32 v24, v30, v43, -v15
	v_mul_f32_e32 v15, v76, v46
	v_fmac_f32_e32 v65, v71, v22
	v_mul_f32_e32 v30, v30, v44
	v_fma_f32 v71, v28, v45, -v15
	s_waitcnt vmcnt(3)
	v_mul_f32_e32 v15, v78, v52
	v_fmac_f32_e32 v30, v74, v43
	v_mul_f32_e32 v28, v28, v46
	v_fma_f32 v74, v32, v51, -v15
	v_mul_f32_e32 v32, v32, v52
	v_mul_f32_e32 v15, v68, v54
	v_fmac_f32_e32 v28, v76, v45
	v_fmac_f32_e32 v32, v78, v51
	v_fma_f32 v76, v34, v53, -v15
	v_mul_f32_e32 v78, v34, v54
	s_waitcnt vmcnt(2)
	v_mul_f32_e32 v15, v20, v8
	v_fmac_f32_e32 v78, v68, v53
	v_fma_f32 v68, v36, v7, -v15
	global_load_dwordx4 v[15:18], v80, s[8:9] offset:48
	global_load_dwordx2 v[22:23], v80, s[8:9] offset:64
	v_mul_f32_e32 v79, v36, v8
	v_fmac_f32_e32 v79, v20, v7
	s_waitcnt vmcnt(2)
	v_mul_f32_e32 v20, v75, v60
	v_mul_f32_e32 v7, v72, v56
	;; [unrolled: 1-line block ×3, first 2 shown]
	v_fma_f32 v45, v27, v59, -v20
	v_mul_f32_e32 v20, v77, v62
	v_fma_f32 v36, v66, v55, -v7
	v_fmac_f32_e32 v34, v72, v55
	v_fma_f32 v55, v31, v61, -v20
	v_mul_f32_e32 v7, v73, v58
	v_fma_f32 v53, v29, v57, -v7
	ds_read2_b32 v[7:8], v37 offset1:160
	v_mul_f32_e32 v51, v29, v58
	v_fmac_f32_e32 v51, v73, v57
	v_mul_f32_e32 v43, v27, v60
	v_fmac_f32_e32 v43, v75, v59
	v_sub_f32_e32 v27, v68, v74
	v_mul_f32_e32 v52, v31, v62
	v_fmac_f32_e32 v52, v77, v61
	v_sub_f32_e32 v29, v32, v79
	s_waitcnt vmcnt(0) lgkmcnt(0)
	s_barrier
	v_mul_f32_e32 v20, v67, v16
	v_mul_f32_e32 v44, v33, v16
	v_add_f32_e32 v16, v70, v71
	v_fma_f32 v46, v33, v15, -v20
	v_fmac_f32_e32 v44, v67, v15
	v_mul_f32_e32 v15, v19, v18
	v_mul_f32_e32 v54, v35, v18
	v_fma_f32 v16, -0.5, v16, v5
	v_fma_f32 v56, v35, v17, -v15
	v_fmac_f32_e32 v54, v19, v17
	v_mul_f32_e32 v15, v64, v23
	v_mul_f32_e32 v35, v49, v23
	v_sub_f32_e32 v17, v63, v78
	v_mov_b32_e32 v18, v16
	v_fma_f32 v47, v49, v22, -v15
	v_fmac_f32_e32 v35, v64, v22
	v_fmac_f32_e32 v18, 0x3f737871, v17
	v_sub_f32_e32 v19, v25, v28
	v_sub_f32_e32 v20, v82, v70
	;; [unrolled: 1-line block ×3, first 2 shown]
	v_fmac_f32_e32 v16, 0xbf737871, v17
	v_fmac_f32_e32 v18, 0x3f167918, v19
	v_add_f32_e32 v20, v20, v22
	v_fmac_f32_e32 v16, 0xbf167918, v19
	v_fmac_f32_e32 v18, 0x3e9e377a, v20
	;; [unrolled: 1-line block ×3, first 2 shown]
	v_add_f32_e32 v20, v82, v76
	v_fma_f32 v23, -0.5, v20, v5
	v_mov_b32_e32 v49, v23
	v_add_f32_e32 v15, v5, v82
	v_fmac_f32_e32 v49, 0xbf737871, v19
	v_sub_f32_e32 v5, v70, v82
	v_sub_f32_e32 v20, v71, v76
	v_fmac_f32_e32 v23, 0x3f737871, v19
	v_fmac_f32_e32 v49, 0x3f167918, v17
	v_add_f32_e32 v5, v5, v20
	v_fmac_f32_e32 v23, 0xbf167918, v17
	v_fmac_f32_e32 v49, 0x3e9e377a, v5
	;; [unrolled: 1-line block ×3, first 2 shown]
	v_add_f32_e32 v5, v7, v63
	v_add_f32_e32 v5, v5, v25
	;; [unrolled: 1-line block ×5, first 2 shown]
	v_fma_f32 v58, -0.5, v5, v7
	v_sub_f32_e32 v5, v82, v76
	v_mov_b32_e32 v59, v58
	v_fmac_f32_e32 v59, 0xbf737871, v5
	v_sub_f32_e32 v17, v70, v71
	v_sub_f32_e32 v19, v63, v25
	;; [unrolled: 1-line block ×3, first 2 shown]
	v_fmac_f32_e32 v58, 0x3f737871, v5
	v_fmac_f32_e32 v59, 0xbf167918, v17
	v_add_f32_e32 v19, v19, v20
	v_fmac_f32_e32 v58, 0x3f167918, v17
	v_fmac_f32_e32 v59, 0x3e9e377a, v19
	;; [unrolled: 1-line block ×3, first 2 shown]
	v_add_f32_e32 v19, v63, v78
	v_fma_f32 v7, -0.5, v19, v7
	v_mov_b32_e32 v60, v7
	v_fmac_f32_e32 v60, 0x3f737871, v17
	v_fmac_f32_e32 v7, 0xbf737871, v17
	;; [unrolled: 1-line block ×4, first 2 shown]
	v_add_f32_e32 v5, v26, v69
	v_add_f32_e32 v5, v5, v24
	v_sub_f32_e32 v19, v25, v63
	v_sub_f32_e32 v20, v28, v78
	v_add_f32_e32 v5, v5, v74
	v_add_f32_e32 v19, v19, v20
	;; [unrolled: 1-line block ×4, first 2 shown]
	v_fmac_f32_e32 v60, 0x3e9e377a, v19
	v_fmac_f32_e32 v7, 0x3e9e377a, v19
	v_fma_f32 v19, -0.5, v5, v26
	v_sub_f32_e32 v5, v65, v79
	v_mov_b32_e32 v22, v19
	v_fmac_f32_e32 v22, 0x3f737871, v5
	v_sub_f32_e32 v20, v30, v32
	v_sub_f32_e32 v25, v69, v24
	v_fmac_f32_e32 v19, 0xbf737871, v5
	v_fmac_f32_e32 v22, 0x3f167918, v20
	v_add_f32_e32 v25, v25, v27
	v_fmac_f32_e32 v19, 0xbf167918, v20
	v_fmac_f32_e32 v22, 0x3e9e377a, v25
	;; [unrolled: 1-line block ×3, first 2 shown]
	v_add_f32_e32 v25, v69, v68
	v_fmac_f32_e32 v26, -0.5, v25
	v_mov_b32_e32 v25, v26
	v_fmac_f32_e32 v25, 0xbf737871, v20
	v_fmac_f32_e32 v26, 0x3f737871, v20
	v_fmac_f32_e32 v25, 0x3f167918, v5
	v_fmac_f32_e32 v26, 0xbf167918, v5
	v_add_f32_e32 v5, v81, v65
	v_add_f32_e32 v5, v5, v30
	;; [unrolled: 1-line block ×3, first 2 shown]
	v_sub_f32_e32 v27, v24, v69
	v_sub_f32_e32 v28, v74, v68
	v_add_f32_e32 v61, v5, v79
	v_add_f32_e32 v5, v30, v32
	;; [unrolled: 1-line block ×3, first 2 shown]
	v_fma_f32 v62, -0.5, v5, v81
	v_fmac_f32_e32 v25, 0x3e9e377a, v27
	v_fmac_f32_e32 v26, 0x3e9e377a, v27
	v_sub_f32_e32 v5, v69, v68
	v_mov_b32_e32 v27, v62
	v_fmac_f32_e32 v27, 0xbf737871, v5
	v_sub_f32_e32 v20, v24, v74
	v_sub_f32_e32 v24, v65, v30
	;; [unrolled: 1-line block ×3, first 2 shown]
	v_fmac_f32_e32 v62, 0x3f737871, v5
	v_fmac_f32_e32 v27, 0xbf167918, v20
	v_add_f32_e32 v24, v24, v28
	v_fmac_f32_e32 v62, 0x3f167918, v20
	v_fmac_f32_e32 v27, 0x3e9e377a, v24
	;; [unrolled: 1-line block ×3, first 2 shown]
	v_add_f32_e32 v24, v65, v79
	v_fmac_f32_e32 v81, -0.5, v24
	v_mov_b32_e32 v24, v81
	v_sub_f32_e32 v28, v30, v65
	v_fmac_f32_e32 v81, 0xbf737871, v20
	v_fmac_f32_e32 v24, 0x3f737871, v20
	v_add_f32_e32 v28, v28, v29
	v_fmac_f32_e32 v81, 0x3f167918, v5
	v_fmac_f32_e32 v24, 0xbf167918, v5
	;; [unrolled: 1-line block ×3, first 2 shown]
	v_mul_f32_e32 v63, 0x3f167918, v27
	v_add_f32_e32 v15, v15, v70
	v_fmac_f32_e32 v24, 0x3e9e377a, v28
	v_fmac_f32_e32 v63, 0x3f4f1bbd, v22
	v_mul_f32_e32 v5, 0x3e9e377a, v26
	v_mul_f32_e32 v67, 0xbf167918, v22
	;; [unrolled: 1-line block ×3, first 2 shown]
	v_add_f32_e32 v15, v15, v71
	v_mul_f32_e32 v64, 0x3f737871, v24
	v_fma_f32 v65, v81, s4, -v5
	v_mul_f32_e32 v5, 0x3f4f1bbd, v19
	v_add_f32_e32 v30, v57, v61
	v_fma_f32 v68, v26, s7, -v22
	v_mul_f32_e32 v22, 0x3f4f1bbd, v62
	v_sub_f32_e32 v26, v57, v61
	v_add_f32_e32 v57, v53, v55
	v_add_f32_e32 v15, v15, v76
	v_fmac_f32_e32 v64, 0x3e9e377a, v25
	v_fma_f32 v66, v62, s5, -v5
	v_fmac_f32_e32 v67, 0x3f4f1bbd, v27
	v_mul_f32_e32 v25, 0xbf737871, v25
	v_fma_f32 v62, v19, s6, -v22
	v_fma_f32 v57, -0.5, v57, v6
	v_add_f32_e32 v32, v15, v17
	v_add_f32_e32 v28, v23, v65
	;; [unrolled: 1-line block ×3, first 2 shown]
	v_fmac_f32_e32 v25, 0x3e9e377a, v24
	v_add_f32_e32 v22, v58, v62
	v_sub_f32_e32 v19, v15, v17
	v_sub_f32_e32 v15, v23, v65
	;; [unrolled: 1-line block ×5, first 2 shown]
	v_mov_b32_e32 v59, v57
	v_add_f32_e32 v27, v60, v25
	v_sub_f32_e32 v25, v60, v25
	v_fmac_f32_e32 v59, 0x3f737871, v58
	v_sub_f32_e32 v60, v51, v52
	v_sub_f32_e32 v61, v50, v53
	;; [unrolled: 1-line block ×3, first 2 shown]
	v_fmac_f32_e32 v57, 0xbf737871, v58
	v_fmac_f32_e32 v59, 0x3f167918, v60
	v_add_f32_e32 v61, v61, v62
	v_fmac_f32_e32 v57, 0xbf167918, v60
	v_fmac_f32_e32 v59, 0x3e9e377a, v61
	;; [unrolled: 1-line block ×3, first 2 shown]
	v_add_f32_e32 v61, v50, v56
	v_add_f32_e32 v33, v18, v63
	;; [unrolled: 1-line block ×3, first 2 shown]
	v_sub_f32_e32 v17, v18, v63
	v_sub_f32_e32 v18, v49, v64
	v_add_f32_e32 v49, v6, v50
	v_fmac_f32_e32 v6, -0.5, v61
	v_mov_b32_e32 v61, v6
	v_add_f32_e32 v49, v49, v53
	v_fmac_f32_e32 v61, 0xbf737871, v60
	v_fmac_f32_e32 v6, 0x3f737871, v60
	v_add_f32_e32 v60, v51, v52
	v_add_f32_e32 v49, v49, v55
	v_sub_f32_e32 v62, v53, v50
	v_sub_f32_e32 v63, v55, v56
	v_fma_f32 v60, -0.5, v60, v8
	v_add_f32_e32 v49, v49, v56
	v_fmac_f32_e32 v61, 0x3f167918, v58
	v_add_f32_e32 v62, v62, v63
	v_fmac_f32_e32 v6, 0xbf167918, v58
	v_sub_f32_e32 v50, v50, v56
	v_mov_b32_e32 v56, v60
	v_fmac_f32_e32 v61, 0x3e9e377a, v62
	v_fmac_f32_e32 v6, 0x3e9e377a, v62
	;; [unrolled: 1-line block ×3, first 2 shown]
	v_sub_f32_e32 v53, v53, v55
	v_sub_f32_e32 v55, v48, v51
	v_sub_f32_e32 v62, v54, v52
	v_fmac_f32_e32 v60, 0x3f737871, v50
	v_fmac_f32_e32 v56, 0xbf167918, v53
	v_add_f32_e32 v55, v55, v62
	v_fmac_f32_e32 v60, 0x3f167918, v53
	v_fmac_f32_e32 v56, 0x3e9e377a, v55
	;; [unrolled: 1-line block ×3, first 2 shown]
	v_add_f32_e32 v55, v48, v54
	v_add_f32_e32 v58, v8, v48
	v_fmac_f32_e32 v8, -0.5, v55
	v_mov_b32_e32 v55, v8
	v_add_f32_e32 v58, v58, v51
	v_fmac_f32_e32 v55, 0x3f737871, v53
	v_sub_f32_e32 v48, v51, v48
	v_sub_f32_e32 v51, v52, v54
	v_fmac_f32_e32 v8, 0xbf737871, v53
	v_fmac_f32_e32 v55, 0xbf167918, v50
	v_add_f32_e32 v48, v48, v51
	v_fmac_f32_e32 v8, 0x3f167918, v50
	v_fmac_f32_e32 v55, 0x3e9e377a, v48
	v_fmac_f32_e32 v8, 0x3e9e377a, v48
	v_add_f32_e32 v48, v13, v36
	v_add_f32_e32 v48, v48, v45
	;; [unrolled: 1-line block ×5, first 2 shown]
	v_fma_f32 v51, -0.5, v48, v13
	v_add_f32_e32 v58, v58, v52
	v_sub_f32_e32 v48, v34, v35
	v_mov_b32_e32 v52, v51
	v_add_f32_e32 v58, v58, v54
	v_fmac_f32_e32 v52, 0x3f737871, v48
	v_sub_f32_e32 v53, v43, v44
	v_sub_f32_e32 v54, v36, v45
	v_sub_f32_e32 v62, v47, v46
	v_fmac_f32_e32 v51, 0xbf737871, v48
	v_fmac_f32_e32 v52, 0x3f167918, v53
	v_add_f32_e32 v54, v54, v62
	v_fmac_f32_e32 v51, 0xbf167918, v53
	v_fmac_f32_e32 v52, 0x3e9e377a, v54
	;; [unrolled: 1-line block ×3, first 2 shown]
	v_add_f32_e32 v54, v36, v47
	v_fmac_f32_e32 v13, -0.5, v54
	v_mov_b32_e32 v54, v13
	v_fmac_f32_e32 v54, 0xbf737871, v53
	v_fmac_f32_e32 v13, 0x3f737871, v53
	;; [unrolled: 1-line block ×4, first 2 shown]
	v_add_f32_e32 v48, v14, v34
	v_add_f32_e32 v48, v48, v43
	v_sub_f32_e32 v62, v45, v36
	v_sub_f32_e32 v63, v46, v47
	v_add_f32_e32 v48, v48, v44
	v_add_f32_e32 v62, v62, v63
	;; [unrolled: 1-line block ×4, first 2 shown]
	v_fmac_f32_e32 v54, 0x3e9e377a, v62
	v_fmac_f32_e32 v13, 0x3e9e377a, v62
	v_fma_f32 v62, -0.5, v48, v14
	v_sub_f32_e32 v36, v36, v47
	v_mov_b32_e32 v47, v62
	v_fmac_f32_e32 v47, 0xbf737871, v36
	v_sub_f32_e32 v45, v45, v46
	v_sub_f32_e32 v46, v34, v43
	;; [unrolled: 1-line block ×3, first 2 shown]
	v_fmac_f32_e32 v62, 0x3f737871, v36
	v_fmac_f32_e32 v47, 0xbf167918, v45
	v_add_f32_e32 v46, v46, v48
	v_fmac_f32_e32 v62, 0x3f167918, v45
	v_fmac_f32_e32 v47, 0x3e9e377a, v46
	;; [unrolled: 1-line block ×3, first 2 shown]
	v_add_f32_e32 v46, v34, v35
	v_fmac_f32_e32 v14, -0.5, v46
	v_mov_b32_e32 v63, v14
	v_sub_f32_e32 v34, v43, v34
	v_sub_f32_e32 v35, v44, v35
	v_fmac_f32_e32 v14, 0xbf737871, v45
	v_add_f32_e32 v34, v34, v35
	v_fmac_f32_e32 v14, 0x3f167918, v36
	v_fmac_f32_e32 v14, 0x3e9e377a, v34
	v_mul_f32_e32 v44, 0x3e9e377a, v13
	v_mul_f32_e32 v35, 0x3f167918, v47
	v_fma_f32 v65, v14, s4, -v44
	v_mul_f32_e32 v14, 0x3e9e377a, v14
	v_fmac_f32_e32 v63, 0x3f737871, v45
	v_fmac_f32_e32 v35, 0x3f4f1bbd, v52
	v_mul_f32_e32 v52, 0xbf167918, v52
	v_fma_f32 v13, v13, s7, -v14
	v_fmac_f32_e32 v63, 0xbf167918, v36
	v_fmac_f32_e32 v52, 0x3f4f1bbd, v47
	v_add_f32_e32 v47, v8, v13
	v_sub_f32_e32 v8, v8, v13
	v_mov_b32_e32 v13, 2
	v_fmac_f32_e32 v63, 0x3e9e377a, v34
	v_lshlrev_b32_sdwa v11, v13, v11 dst_sel:DWORD dst_unused:UNUSED_PAD src0_sel:DWORD src1_sel:BYTE_0
	v_add_f32_e32 v5, v16, v66
	v_sub_f32_e32 v16, v16, v66
	v_add_f32_e32 v36, v59, v35
	v_mul_f32_e32 v43, 0x3f737871, v63
	v_add_f32_e32 v66, v6, v65
	v_add_f32_e32 v48, v56, v52
	v_sub_f32_e32 v35, v59, v35
	v_sub_f32_e32 v59, v6, v65
	;; [unrolled: 1-line block ×3, first 2 shown]
	v_add3_u32 v52, 0, v12, v11
	v_fmac_f32_e32 v43, 0x3e9e377a, v54
	v_mul_f32_e32 v44, 0x3f4f1bbd, v51
	v_mul_f32_e32 v14, 0x3f4f1bbd, v62
	ds_write2_b32 v52, v32, v33 offset1:10
	ds_write2_b32 v52, v20, v28 offset0:20 offset1:30
	ds_write2_b32 v52, v5, v19 offset0:40 offset1:50
	;; [unrolled: 1-line block ×4, first 2 shown]
	v_mul_u32_u24_e32 v5, 0x190, v9
	v_lshlrev_b32_e32 v9, 2, v10
	v_add_f32_e32 v34, v49, v50
	v_add_f32_e32 v64, v61, v43
	v_fma_f32 v67, v62, s5, -v44
	v_add_f32_e32 v46, v58, v53
	v_mul_f32_e32 v54, 0xbf737871, v54
	v_fma_f32 v14, v51, s6, -v14
	v_sub_f32_e32 v43, v61, v43
	v_sub_f32_e32 v51, v58, v53
	v_add3_u32 v53, 0, v5, v9
	v_lshl_add_u32 v5, v0, 2, 0
	v_add_f32_e32 v29, v7, v68
	v_sub_f32_e32 v7, v7, v68
	v_add_f32_e32 v68, v57, v67
	v_fmac_f32_e32 v54, 0x3e9e377a, v63
	v_sub_f32_e32 v62, v49, v50
	v_sub_f32_e32 v57, v57, v67
	ds_write2_b32 v53, v34, v36 offset1:10
	ds_write2_b32 v53, v64, v66 offset0:20 offset1:30
	ds_write2_b32 v53, v68, v62 offset0:40 offset1:50
	;; [unrolled: 1-line block ×4, first 2 shown]
	v_add_u32_e32 v28, 0x80, v5
	v_add_u32_e32 v43, 0x1800, v37
	;; [unrolled: 1-line block ×7, first 2 shown]
	s_movk_i32 s4, 0x64
	v_add_f32_e32 v45, v55, v54
	v_add_f32_e32 v44, v60, v14
	v_sub_f32_e32 v49, v55, v54
	v_sub_f32_e32 v50, v60, v14
	s_waitcnt lgkmcnt(0)
	s_barrier
	ds_read2_b32 v[13:14], v37 offset1:160
	ds_read2st64_b32 v[11:12], v28 offset0:7 offset1:12
	ds_read2_b32 v[60:61], v43 offset0:64 offset1:224
	ds_read2_b32 v[19:20], v32 offset0:64 offset1:224
	;; [unrolled: 1-line block ×3, first 2 shown]
	ds_read2_b32 v[17:18], v35 offset1:160
	ds_read2st64_b32 v[9:10], v37 offset0:5 offset1:10
	ds_read2_b32 v[64:65], v36 offset1:160
	ds_read2_b32 v[66:67], v34 offset1:160
	ds_read2_b32 v[15:16], v33 offset0:64 offset1:224
	s_waitcnt lgkmcnt(0)
	s_barrier
	ds_write2_b32 v52, v30, v31 offset1:10
	ds_write2_b32 v52, v27, v29 offset0:20 offset1:30
	ds_write2_b32 v52, v22, v26 offset0:40 offset1:50
	;; [unrolled: 1-line block ×4, first 2 shown]
	ds_write2_b32 v53, v46, v48 offset1:10
	ds_write2_b32 v53, v45, v47 offset0:20 offset1:30
	ds_write2_b32 v53, v44, v51 offset0:40 offset1:50
	;; [unrolled: 1-line block ×4, first 2 shown]
	v_add_u32_e32 v6, 0xffffff9c, v0
	v_cmp_gt_u32_e32 vcc, s4, v0
	v_cndmask_b32_e32 v23, v6, v0, vcc
	v_mul_i32_i24_e32 v6, 3, v23
	v_mov_b32_e32 v7, 0
	v_lshlrev_b64 v[24:25], 3, v[6:7]
	v_lshrrev_b16_e32 v6, 2, v21
	v_mul_u32_u24_e32 v6, 0x147b, v6
	v_add_co_u32_e32 v30, vcc, s8, v24
	v_lshrrev_b32_e32 v24, 17, v6
	v_mul_lo_u16_e32 v6, 0x64, v24
	v_sub_u16_e32 v21, v21, v6
	v_mov_b32_e32 v22, s9
	v_mul_u32_u24_e32 v6, 3, v21
	v_addc_co_u32_e32 v31, vcc, v22, v25, vcc
	v_lshlrev_b32_e32 v72, 3, v6
	v_add_u32_e32 v6, 0x140, v0
	s_waitcnt lgkmcnt(0)
	s_barrier
	global_load_dwordx4 v[44:47], v[30:31], off offset:720
	v_lshrrev_b16_e32 v8, 2, v6
	v_mul_u32_u24_e32 v8, 0x147b, v8
	v_lshrrev_b32_e32 v25, 17, v8
	v_mul_lo_u16_e32 v8, 0x64, v25
	v_sub_u16_e32 v26, v6, v8
	v_mul_u32_u24_e32 v8, 3, v26
	global_load_dwordx4 v[48:51], v72, s[8:9] offset:720
	v_lshlrev_b32_e32 v73, 3, v8
	global_load_dwordx4 v[52:55], v73, s[8:9] offset:720
	v_add_u16_e32 v8, 0x1e0, v0
	v_lshrrev_b16_e32 v27, 2, v8
	v_mul_u32_u24_e32 v27, 0x147b, v27
	v_lshrrev_b32_e32 v27, 17, v27
	v_mul_lo_u16_e32 v29, 0x64, v27
	v_sub_u16_e32 v29, v8, v29
	v_mul_u32_u24_e32 v8, 3, v29
	v_lshlrev_b32_e32 v74, 3, v8
	global_load_dwordx4 v[56:59], v74, s[8:9] offset:720
	ds_read2st64_b32 v[68:69], v28 offset0:7 offset1:12
	ds_read2_b32 v[70:71], v43 offset0:64 offset1:224
	s_movk_i32 s4, 0x63
	v_cmp_lt_u32_e32 vcc, s4, v0
	v_lshlrev_b32_e32 v23, 2, v23
	v_lshlrev_b32_e32 v21, 2, v21
	s_movk_i32 s4, 0x1000
	s_movk_i32 s5, 0x50
	;; [unrolled: 1-line block ×4, first 2 shown]
	s_waitcnt vmcnt(3) lgkmcnt(1)
	v_mul_f32_e32 v8, v69, v45
	v_fma_f32 v75, v12, v44, -v8
	v_mul_f32_e32 v12, v12, v45
	v_fmac_f32_e32 v12, v69, v44
	ds_read2_b32 v[44:45], v1 offset0:64 offset1:224
	s_waitcnt lgkmcnt(1)
	v_mul_f32_e32 v8, v70, v47
	v_fma_f32 v69, v60, v46, -v8
	v_mul_f32_e32 v60, v60, v47
	v_fmac_f32_e32 v60, v70, v46
	s_waitcnt vmcnt(2)
	v_mul_f32_e32 v46, v71, v51
	v_fma_f32 v70, v61, v50, -v46
	s_waitcnt lgkmcnt(0)
	v_mul_f32_e32 v46, v44, v49
	v_fma_f32 v76, v62, v48, -v46
	v_mul_f32_e32 v62, v62, v49
	v_fmac_f32_e32 v62, v44, v48
	ds_read2_b32 v[46:47], v36 offset1:160
	ds_read2_b32 v[48:49], v34 offset1:160
	v_mul_f32_e32 v61, v61, v51
	s_waitcnt vmcnt(1)
	v_mul_f32_e32 v44, v45, v53
	v_fmac_f32_e32 v61, v71, v50
	v_fma_f32 v71, v63, v52, -v44
	v_mul_f32_e32 v53, v63, v53
	s_waitcnt lgkmcnt(1)
	v_mul_f32_e32 v44, v46, v55
	v_fmac_f32_e32 v53, v45, v52
	v_fma_f32 v52, v64, v54, -v44
	v_mul_f32_e32 v55, v64, v55
	s_waitcnt vmcnt(0) lgkmcnt(0)
	v_mul_f32_e32 v44, v48, v57
	v_add_u32_e32 v8, 0x280, v0
	v_fmac_f32_e32 v55, v46, v54
	v_fma_f32 v54, v66, v56, -v44
	v_mul_f32_e32 v57, v66, v57
	v_mul_f32_e32 v44, v47, v59
	v_fmac_f32_e32 v57, v48, v56
	v_fma_f32 v56, v65, v58, -v44
	v_lshrrev_b16_e32 v44, 2, v8
	v_mul_f32_e32 v59, v65, v59
	v_mul_u32_u24_e32 v44, 0x147b, v44
	v_fmac_f32_e32 v59, v47, v58
	v_lshrrev_b32_e32 v58, 17, v44
	v_mul_lo_u16_e32 v44, 0x64, v58
	v_sub_u16_e32 v63, v8, v44
	v_mul_u32_u24_e32 v44, 3, v63
	v_lshlrev_b32_e32 v64, 3, v44
	global_load_dwordx4 v[44:47], v64, s[8:9] offset:720
	global_load_dwordx2 v[50:51], v[30:31], off offset:736
	v_sub_f32_e32 v52, v9, v52
	v_fma_f32 v9, v9, 2.0, -v52
	s_waitcnt vmcnt(1)
	v_mul_f32_e32 v30, v49, v45
	v_fma_f32 v65, v67, v44, -v30
	ds_read2_b32 v[30:31], v32 offset0:64 offset1:224
	v_mul_f32_e32 v66, v67, v45
	v_fmac_f32_e32 v66, v49, v44
	v_mul_f32_e32 v77, v19, v47
	s_waitcnt lgkmcnt(0)
	v_mul_f32_e32 v44, v30, v47
	v_fma_f32 v67, v19, v46, -v44
	v_fmac_f32_e32 v77, v30, v46
	global_load_dwordx2 v[44:45], v72, s[8:9] offset:736
	global_load_dwordx2 v[46:47], v73, s[8:9] offset:736
	;; [unrolled: 1-line block ×3, first 2 shown]
	s_waitcnt vmcnt(3)
	v_mul_f32_e32 v19, v31, v51
	v_fma_f32 v72, v20, v50, -v19
	v_mul_f32_e32 v51, v20, v51
	global_load_dwordx2 v[19:20], v64, s[8:9] offset:736
	v_fmac_f32_e32 v51, v31, v50
	ds_read2_b32 v[30:31], v35 offset1:160
	v_sub_f32_e32 v51, v12, v51
	v_fma_f32 v12, v12, 2.0, -v51
	s_waitcnt vmcnt(3) lgkmcnt(0)
	v_mul_f32_e32 v50, v30, v45
	v_fma_f32 v50, v17, v44, -v50
	v_mul_f32_e32 v45, v17, v45
	s_waitcnt vmcnt(2)
	v_mul_f32_e32 v17, v31, v47
	v_fmac_f32_e32 v45, v30, v44
	v_fma_f32 v44, v18, v46, -v17
	v_mul_f32_e32 v47, v18, v47
	ds_read2_b32 v[17:18], v33 offset0:64 offset1:224
	v_fmac_f32_e32 v47, v31, v46
	ds_read2_b32 v[30:31], v37 offset1:160
	v_sub_f32_e32 v50, v76, v50
	v_sub_f32_e32 v44, v71, v44
	s_waitcnt vmcnt(1) lgkmcnt(1)
	v_mul_f32_e32 v46, v17, v49
	v_fma_f32 v46, v15, v48, -v46
	v_mul_f32_e32 v49, v15, v49
	s_waitcnt vmcnt(0)
	v_mul_f32_e32 v15, v18, v20
	v_fmac_f32_e32 v49, v17, v48
	v_fma_f32 v17, v16, v19, -v15
	v_mul_f32_e32 v20, v16, v20
	ds_read2st64_b32 v[15:16], v37 offset0:5 offset1:10
	s_waitcnt lgkmcnt(1)
	v_sub_f32_e32 v61, v31, v61
	v_fmac_f32_e32 v20, v18, v19
	v_sub_f32_e32 v18, v13, v69
	v_fma_f32 v69, v76, 2.0, -v50
	v_add_f32_e32 v50, v61, v50
	s_waitcnt lgkmcnt(0)
	v_sub_f32_e32 v55, v15, v55
	v_sub_f32_e32 v48, v75, v72
	v_fma_f32 v31, v31, 2.0, -v61
	v_fma_f32 v72, v61, 2.0, -v50
	v_sub_f32_e32 v47, v53, v47
	v_fma_f32 v61, v71, 2.0, -v44
	v_add_f32_e32 v44, v55, v44
	v_fma_f32 v15, v15, 2.0, -v55
	v_fma_f32 v53, v53, 2.0, -v47
	;; [unrolled: 1-line block ×3, first 2 shown]
	v_sub_f32_e32 v55, v68, v59
	v_sub_f32_e32 v49, v57, v49
	;; [unrolled: 1-line block ×4, first 2 shown]
	v_fma_f32 v56, v68, 2.0, -v55
	v_fma_f32 v57, v57, 2.0, -v49
	v_sub_f32_e32 v68, v56, v57
	v_sub_f32_e32 v19, v30, v60
	v_fma_f32 v74, v56, 2.0, -v68
	v_sub_f32_e32 v56, v16, v77
	v_sub_f32_e32 v17, v65, v17
	v_fma_f32 v13, v13, 2.0, -v18
	v_fma_f32 v30, v30, 2.0, -v19
	;; [unrolled: 1-line block ×3, first 2 shown]
	v_sub_f32_e32 v20, v66, v20
	v_fma_f32 v57, v65, 2.0, -v17
	v_add_f32_e32 v17, v56, v17
	v_sub_f32_e32 v60, v13, v60
	v_sub_f32_e32 v64, v30, v12
	v_fma_f32 v16, v16, 2.0, -v56
	v_fma_f32 v59, v66, 2.0, -v20
	;; [unrolled: 1-line block ×3, first 2 shown]
	v_mov_b32_e32 v56, 0x640
	v_fma_f32 v12, v13, 2.0, -v60
	v_fma_f32 v13, v30, 2.0, -v64
	v_sub_f32_e32 v30, v18, v51
	v_sub_f32_e32 v51, v14, v70
	v_cndmask_b32_e32 v56, 0, v56, vcc
	v_fma_f32 v18, v18, 2.0, -v30
	v_fma_f32 v14, v14, 2.0, -v51
	v_sub_f32_e32 v45, v62, v45
	v_add3_u32 v23, 0, v56, v23
	v_fma_f32 v62, v62, 2.0, -v45
	v_sub_f32_e32 v69, v14, v69
	v_sub_f32_e32 v45, v51, v45
	s_barrier
	ds_write2_b32 v23, v12, v18 offset1:100
	v_mul_u32_u24_e32 v12, 0x640, v24
	v_fma_f32 v14, v14, 2.0, -v69
	v_fma_f32 v51, v51, 2.0, -v45
	v_sub_f32_e32 v61, v9, v61
	v_sub_f32_e32 v47, v52, v47
	;; [unrolled: 1-line block ×3, first 2 shown]
	v_add_u32_e32 v18, 0x200, v23
	v_add3_u32 v21, 0, v12, v21
	v_mul_u32_u24_e32 v12, 0x640, v25
	v_lshlrev_b32_e32 v24, 2, v26
	v_fma_f32 v9, v9, 2.0, -v61
	v_fma_f32 v52, v52, 2.0, -v47
	;; [unrolled: 1-line block ×4, first 2 shown]
	ds_write2_b32 v18, v60, v30 offset0:72 offset1:172
	ds_write2_b32 v21, v14, v51 offset1:100
	v_add_u32_e32 v14, 0x200, v21
	v_add3_u32 v24, 0, v12, v24
	v_sub_f32_e32 v54, v11, v54
	v_sub_f32_e32 v49, v53, v49
	v_add_f32_e32 v46, v55, v46
	ds_write2_b32 v14, v69, v45 offset0:72 offset1:172
	ds_write2_b32 v24, v9, v52 offset1:100
	v_mul_u32_u24_e32 v9, 0x640, v27
	v_lshlrev_b32_e32 v12, 2, v29
	v_fma_f32 v11, v11, 2.0, -v54
	v_fma_f32 v53, v53, 2.0, -v49
	;; [unrolled: 1-line block ×3, first 2 shown]
	v_sub_f32_e32 v55, v10, v67
	v_add_u32_e32 v45, 0x200, v24
	v_add3_u32 v27, 0, v9, v12
	v_fma_f32 v10, v10, 2.0, -v55
	ds_write2_b32 v45, v61, v47 offset0:72 offset1:172
	ds_write2_b32 v27, v11, v53 offset1:100
	v_add_u32_e32 v47, 0x200, v27
	v_mul_u32_u24_e32 v9, 0x640, v58
	v_lshlrev_b32_e32 v11, 2, v63
	v_add_f32_e32 v48, v19, v48
	v_sub_f32_e32 v57, v10, v57
	v_sub_f32_e32 v20, v55, v20
	ds_write2_b32 v47, v54, v49 offset0:72 offset1:172
	v_add3_u32 v49, 0, v9, v11
	v_fma_f32 v19, v19, 2.0, -v48
	v_sub_f32_e32 v70, v31, v62
	v_sub_f32_e32 v65, v16, v59
	v_fma_f32 v10, v10, 2.0, -v57
	v_fma_f32 v55, v55, 2.0, -v20
	v_add_u32_e32 v51, 0x200, v49
	v_fma_f32 v31, v31, 2.0, -v70
	v_fma_f32 v15, v15, 2.0, -v71
	;; [unrolled: 1-line block ×3, first 2 shown]
	ds_write2_b32 v49, v10, v55 offset1:100
	ds_write2_b32 v51, v57, v20 offset0:72 offset1:172
	s_waitcnt lgkmcnt(0)
	s_barrier
	ds_read2_b32 v[25:26], v37 offset1:160
	ds_read2st64_b32 v[11:12], v28 offset0:7 offset1:12
	ds_read2_b32 v[29:30], v43 offset0:64 offset1:224
	ds_read2_b32 v[52:53], v32 offset0:64 offset1:224
	;; [unrolled: 1-line block ×3, first 2 shown]
	ds_read2_b32 v[56:57], v35 offset1:160
	ds_read2st64_b32 v[9:10], v37 offset0:5 offset1:10
	ds_read2_b32 v[58:59], v36 offset1:160
	ds_read2_b32 v[60:61], v34 offset1:160
	ds_read2_b32 v[62:63], v33 offset0:64 offset1:224
	s_waitcnt lgkmcnt(0)
	s_barrier
	ds_write2_b32 v23, v13, v19 offset1:100
	ds_write2_b32 v18, v64, v48 offset0:72 offset1:172
	ds_write2_b32 v21, v31, v72 offset1:100
	ds_write2_b32 v14, v70, v50 offset0:72 offset1:172
	;; [unrolled: 2-line block ×5, first 2 shown]
	v_mul_u32_u24_e32 v13, 3, v0
	v_lshlrev_b32_e32 v27, 3, v13
	s_waitcnt lgkmcnt(0)
	s_barrier
	global_load_dwordx4 v[13:16], v27, s[8:9] offset:3120
	v_add_co_u32_e32 v31, vcc, s8, v27
	v_addc_co_u32_e32 v47, vcc, 0, v22, vcc
	v_add_co_u32_e32 v17, vcc, s4, v31
	v_addc_co_u32_e32 v18, vcc, 0, v47, vcc
	global_load_dwordx4 v[17:20], v[17:18], off offset:2864
	v_add_u32_e32 v21, 0xffffffb0, v0
	v_cmp_gt_u32_e32 vcc, s5, v0
	v_cndmask_b32_e32 v76, v21, v6, vcc
	v_mul_i32_i24_e32 v6, 3, v76
	v_lshlrev_b64 v[23:24], 3, v[6:7]
	s_movk_i32 s5, 0x1b30
	v_add_co_u32_e32 v44, vcc, s8, v23
	v_addc_co_u32_e32 v45, vcc, v22, v24, vcc
	global_load_dwordx4 v[21:24], v[44:45], off offset:3120
	global_load_dwordx2 v[64:65], v27, s[8:9] offset:3136
	v_add_co_u32_e32 v46, vcc, s5, v31
	v_addc_co_u32_e32 v47, vcc, 0, v47, vcc
	global_load_dwordx2 v[66:67], v[46:47], off offset:16
	global_load_dwordx2 v[68:69], v[44:45], off offset:3136
	ds_read2st64_b32 v[70:71], v28 offset0:7 offset1:12
	v_add_u32_e32 v6, 0x780, v27
	ds_read2_b32 v[74:75], v43 offset0:64 offset1:224
	global_load_dwordx4 v[44:47], v6, s[8:9] offset:3120
	global_load_dwordx2 v[72:73], v6, s[8:9] offset:3136
	v_add_u32_e32 v27, 0x1680, v27
	global_load_dwordx4 v[48:51], v27, s[8:9] offset:3120
	v_cmp_lt_u32_e32 vcc, s7, v0
	s_movk_i32 s5, 0x640
	s_waitcnt vmcnt(8) lgkmcnt(1)
	v_mul_f32_e32 v6, v71, v14
	v_fma_f32 v6, v12, v13, -v6
	v_mul_f32_e32 v43, v12, v14
	s_waitcnt lgkmcnt(0)
	v_mul_f32_e32 v12, v74, v16
	v_fmac_f32_e32 v43, v71, v13
	v_fma_f32 v71, v29, v15, -v12
	global_load_dwordx2 v[12:13], v27, s[8:9] offset:3136
	v_mul_f32_e32 v77, v29, v16
	v_fmac_f32_e32 v77, v74, v15
	ds_read2_b32 v[14:15], v1 offset0:64 offset1:224
	s_waitcnt vmcnt(8)
	v_mul_f32_e32 v1, v75, v20
	v_mul_f32_e32 v27, v30, v20
	v_fma_f32 v1, v30, v19, -v1
	ds_read2_b32 v[29:30], v37 offset1:160
	s_waitcnt lgkmcnt(1)
	v_mul_f32_e32 v16, v14, v18
	v_fma_f32 v74, v54, v17, -v16
	v_mul_f32_e32 v54, v54, v18
	v_fmac_f32_e32 v27, v75, v19
	v_fmac_f32_e32 v54, v14, v17
	ds_read2_b32 v[16:17], v32 offset0:64 offset1:224
	ds_read2_b32 v[18:19], v35 offset1:160
	ds_read2_b32 v[31:32], v36 offset1:160
	s_waitcnt vmcnt(7)
	v_mul_f32_e32 v14, v15, v22
	v_fma_f32 v35, v55, v21, -v14
	v_mul_f32_e32 v22, v55, v22
	v_fmac_f32_e32 v22, v15, v21
	s_waitcnt lgkmcnt(0)
	v_mul_f32_e32 v14, v31, v24
	v_fma_f32 v36, v58, v23, -v14
	v_mul_f32_e32 v24, v58, v24
	ds_read2st64_b32 v[14:15], v37 offset0:5 offset1:10
	ds_read2_b32 v[20:21], v34 offset1:160
	v_fmac_f32_e32 v24, v31, v23
	s_waitcnt vmcnt(6)
	v_mul_f32_e32 v23, v17, v65
	v_mul_f32_e32 v31, v53, v65
	v_fma_f32 v23, v53, v64, -v23
	v_fmac_f32_e32 v31, v17, v64
	s_waitcnt vmcnt(5)
	v_mul_f32_e32 v17, v18, v67
	v_mul_f32_e32 v53, v56, v67
	v_fma_f32 v34, v56, v66, -v17
	v_fmac_f32_e32 v53, v18, v66
	ds_read2_b32 v[17:18], v33 offset0:64 offset1:224
	s_waitcnt vmcnt(4)
	v_mul_f32_e32 v55, v57, v69
	v_mul_f32_e32 v33, v19, v69
	v_fmac_f32_e32 v55, v19, v68
	s_waitcnt vmcnt(3) lgkmcnt(1)
	v_mul_f32_e32 v19, v20, v45
	v_mul_f32_e32 v45, v60, v45
	v_fma_f32 v19, v60, v44, -v19
	v_fmac_f32_e32 v45, v20, v44
	v_mul_f32_e32 v20, v32, v47
	v_mul_f32_e32 v44, v59, v47
	v_fma_f32 v20, v59, v46, -v20
	v_fmac_f32_e32 v44, v32, v46
	s_waitcnt vmcnt(2)
	v_mul_f32_e32 v46, v62, v73
	s_waitcnt lgkmcnt(0)
	v_mul_f32_e32 v32, v17, v73
	v_fmac_f32_e32 v46, v17, v72
	s_waitcnt vmcnt(1)
	v_mul_f32_e32 v17, v21, v49
	v_mul_f32_e32 v47, v61, v49
	v_fma_f32 v17, v61, v48, -v17
	v_fmac_f32_e32 v47, v21, v48
	v_mul_f32_e32 v48, v52, v51
	v_mul_f32_e32 v21, v16, v51
	v_fmac_f32_e32 v48, v16, v50
	v_sub_f32_e32 v31, v43, v31
	v_fma_f32 v43, v43, 2.0, -v31
	v_sub_f32_e32 v23, v6, v23
	v_fma_f32 v21, v52, v50, -v21
	v_sub_f32_e32 v1, v26, v1
	v_fma_f32 v6, v6, 2.0, -v23
	v_fma_f32 v33, v57, v68, -v33
	v_sub_f32_e32 v24, v14, v24
	v_fma_f32 v14, v14, 2.0, -v24
	v_fma_f32 v32, v62, v72, -v32
	v_add_u32_e32 v59, 0x600, v37
	v_sub_f32_e32 v20, v11, v20
	v_sub_f32_e32 v21, v10, v21
	s_waitcnt vmcnt(0)
	s_barrier
	v_fma_f32 v11, v11, 2.0, -v20
	v_fma_f32 v10, v10, 2.0, -v21
	v_add_u32_e32 v60, 0x2600, v5
	v_mul_f32_e32 v16, v18, v13
	v_mul_f32_e32 v13, v63, v13
	v_fmac_f32_e32 v13, v18, v12
	v_sub_f32_e32 v18, v29, v77
	v_fma_f32 v29, v29, 2.0, -v18
	v_fma_f32 v16, v63, v12, -v16
	v_sub_f32_e32 v12, v25, v71
	v_sub_f32_e32 v43, v29, v43
	v_fma_f32 v49, v29, 2.0, -v43
	v_sub_f32_e32 v29, v12, v31
	v_add_f32_e32 v31, v18, v23
	v_fma_f32 v50, v18, 2.0, -v31
	v_sub_f32_e32 v18, v30, v27
	v_fma_f32 v23, v26, 2.0, -v1
	v_fma_f32 v26, v30, 2.0, -v18
	v_sub_f32_e32 v30, v54, v53
	v_fma_f32 v51, v54, 2.0, -v30
	v_sub_f32_e32 v51, v26, v51
	v_sub_f32_e32 v27, v74, v34
	v_fma_f32 v52, v26, 2.0, -v51
	v_sub_f32_e32 v26, v1, v30
	v_sub_f32_e32 v30, v22, v55
	v_fma_f32 v34, v74, 2.0, -v27
	v_add_f32_e32 v53, v18, v27
	v_sub_f32_e32 v27, v35, v33
	v_fma_f32 v22, v22, 2.0, -v30
	v_fma_f32 v54, v18, 2.0, -v53
	v_sub_f32_e32 v18, v9, v36
	v_fma_f32 v33, v35, 2.0, -v27
	v_sub_f32_e32 v35, v14, v22
	;; [unrolled: 2-line block ×3, first 2 shown]
	v_add_f32_e32 v55, v24, v27
	v_sub_f32_e32 v22, v70, v44
	v_sub_f32_e32 v27, v19, v32
	v_sub_f32_e32 v30, v45, v46
	v_fma_f32 v25, v25, 2.0, -v12
	v_fma_f32 v12, v12, 2.0, -v29
	;; [unrolled: 1-line block ×4, first 2 shown]
	v_add_f32_e32 v45, v22, v27
	v_fma_f32 v9, v9, 2.0, -v18
	v_fma_f32 v56, v24, 2.0, -v55
	;; [unrolled: 1-line block ×4, first 2 shown]
	v_sub_f32_e32 v22, v15, v48
	v_sub_f32_e32 v16, v17, v16
	v_sub_f32_e32 v13, v47, v13
	ds_write2_b32 v59, v12, v1 offset0:16 offset1:176
	v_mov_b32_e32 v12, 0x1900
	v_sub_f32_e32 v6, v25, v6
	v_sub_f32_e32 v34, v23, v34
	;; [unrolled: 1-line block ×3, first 2 shown]
	v_fma_f32 v19, v19, 2.0, -v27
	v_sub_f32_e32 v32, v24, v32
	v_fma_f32 v15, v15, 2.0, -v22
	v_fma_f32 v17, v17, 2.0, -v16
	;; [unrolled: 1-line block ×3, first 2 shown]
	v_add_f32_e32 v57, v22, v16
	v_add_u32_e32 v1, 0xc00, v37
	v_cndmask_b32_e32 v12, 0, v12, vcc
	v_lshlrev_b32_e32 v16, 2, v76
	v_fma_f32 v25, v25, 2.0, -v6
	v_fma_f32 v23, v23, 2.0, -v34
	;; [unrolled: 1-line block ×3, first 2 shown]
	v_sub_f32_e32 v19, v11, v19
	v_fma_f32 v44, v24, 2.0, -v32
	v_sub_f32_e32 v24, v20, v30
	v_sub_f32_e32 v17, v10, v17
	;; [unrolled: 1-line block ×4, first 2 shown]
	ds_write2_b32 v1, v6, v34 offset0:32 offset1:192
	v_add_u32_e32 v6, 0x1200, v37
	v_add3_u32 v34, 0, v12, v16
	v_fma_f32 v18, v18, 2.0, -v14
	v_fma_f32 v11, v11, 2.0, -v19
	;; [unrolled: 1-line block ×6, first 2 shown]
	ds_write2_b32 v37, v25, v23 offset1:160
	ds_write2_b32 v6, v29, v26 offset0:48 offset1:208
	ds_write_b32 v34, v9
	ds_write_b32 v34, v18 offset:1600
	ds_write_b32 v34, v33 offset:3200
	;; [unrolled: 1-line block ×3, first 2 shown]
	v_add_u32_e32 v9, 0x1a00, v5
	v_add_u32_e32 v33, 0x2000, v5
	;; [unrolled: 1-line block ×3, first 2 shown]
	v_fma_f32 v58, v22, 2.0, -v57
	ds_write2_b32 v9, v11, v10 offset0:16 offset1:176
	ds_write2_b32 v33, v20, v15 offset0:32 offset1:192
	ds_write2_b32 v60, v19, v17 offset0:48 offset1:208
	ds_write2_b32 v5, v24, v13 offset0:64 offset1:224
	s_waitcnt lgkmcnt(0)
	s_barrier
	ds_read2_b32 v[10:11], v37 offset1:160
	ds_read2st64_b32 v[12:13], v37 offset0:15 offset1:25
	ds_read2_b32 v[14:15], v38 offset0:32 offset1:192
	ds_read2st64_b32 v[16:17], v37 offset0:5 offset1:10
	ds_read2st64_b32 v[18:19], v28 offset0:7 offset1:12
	ds_read2_b32 v[20:21], v39 offset0:32 offset1:192
	ds_read2_b32 v[22:23], v40 offset0:32 offset1:192
	ds_read2st64_b32 v[24:25], v28 offset0:17 offset1:22
	ds_read2_b32 v[26:27], v42 offset0:32 offset1:192
	ds_read_b32 v29, v41
	ds_read_b32 v30, v37 offset:12160
	s_waitcnt lgkmcnt(0)
	s_barrier
	ds_write2_b32 v37, v49, v52 offset1:160
	ds_write2_b32 v59, v50, v54 offset0:16 offset1:176
	ds_write2_b32 v1, v43, v51 offset0:32 offset1:192
	;; [unrolled: 1-line block ×3, first 2 shown]
	ds_write_b32 v34, v36
	ds_write_b32 v34, v56 offset:1600
	ds_write_b32 v34, v35 offset:3200
	;; [unrolled: 1-line block ×3, first 2 shown]
	ds_write2_b32 v9, v44, v48 offset0:16 offset1:176
	ds_write2_b32 v33, v46, v58 offset0:32 offset1:192
	;; [unrolled: 1-line block ×4, first 2 shown]
	s_waitcnt lgkmcnt(0)
	s_barrier
	s_and_saveexec_b64 s[10:11], s[0:1]
	s_cbranch_execz .LBB0_15
; %bb.14:
	v_add_u32_e32 v6, 0x5a0, v0
	v_lshlrev_b64 v[35:36], 3, v[6:7]
	v_mov_b32_e32 v51, s9
	v_add_co_u32_e32 v1, vcc, s8, v35
	v_addc_co_u32_e32 v5, vcc, v51, v36, vcc
	v_add_co_u32_e32 v35, vcc, 0x3000, v1
	v_addc_co_u32_e32 v36, vcc, 0, v5, vcc
	v_mov_b32_e32 v5, v7
	v_lshlrev_b64 v[4:5], 3, v[4:5]
	v_add_u32_e32 v34, 0x460, v0
	v_add_co_u32_e32 v1, vcc, s8, v4
	s_movk_i32 s0, 0x3000
	global_load_dwordx2 v[43:44], v[35:36], off offset:432
	v_addc_co_u32_e32 v5, vcc, v51, v5, vcc
	v_mov_b32_e32 v35, v7
	v_add_co_u32_e32 v4, vcc, s0, v1
	v_lshlrev_b64 v[34:35], 3, v[34:35]
	v_addc_co_u32_e32 v5, vcc, 0, v5, vcc
	v_add_co_u32_e32 v1, vcc, s8, v34
	v_addc_co_u32_e32 v9, vcc, v51, v35, vcc
	v_add_co_u32_e32 v34, vcc, s0, v1
	v_addc_co_u32_e32 v35, vcc, 0, v9, vcc
	global_load_dwordx2 v[45:46], v[4:5], off offset:432
	global_load_dwordx2 v[47:48], v[34:35], off offset:432
	v_add_u32_e32 v31, 0x3c0, v0
	v_mov_b32_e32 v32, v7
	v_lshlrev_b64 v[4:5], 3, v[31:32]
	v_add_u32_e32 v33, 0x320, v0
	v_add_co_u32_e32 v1, vcc, s8, v4
	v_addc_co_u32_e32 v5, vcc, v51, v5, vcc
	v_mov_b32_e32 v34, v7
	v_add_co_u32_e32 v4, vcc, s0, v1
	v_lshlrev_b64 v[34:35], 3, v[33:34]
	v_addc_co_u32_e32 v5, vcc, 0, v5, vcc
	v_add_co_u32_e32 v1, vcc, s8, v34
	v_addc_co_u32_e32 v9, vcc, v51, v35, vcc
	global_load_dwordx2 v[4:5], v[4:5], off offset:432
	v_add_co_u32_e32 v34, vcc, s0, v1
	v_addc_co_u32_e32 v35, vcc, 0, v9, vcc
	v_mov_b32_e32 v9, v7
	v_lshlrev_b64 v[8:9], 3, v[8:9]
	global_load_dwordx2 v[34:35], v[34:35], off offset:432
	v_add_co_u32_e32 v1, vcc, s8, v8
	v_addc_co_u32_e32 v9, vcc, v51, v9, vcc
	v_add_co_u32_e32 v8, vcc, s0, v1
	v_mov_b32_e32 v1, v7
	v_lshlrev_b64 v[49:50], 3, v[0:1]
	v_addc_co_u32_e32 v9, vcc, 0, v9, vcc
	v_add_co_u32_e32 v1, vcc, s8, v49
	v_addc_co_u32_e32 v32, vcc, v51, v50, vcc
	s_movk_i32 s1, 0x4000
	v_add_co_u32_e32 v51, vcc, s1, v1
	v_addc_co_u32_e32 v52, vcc, 0, v32, vcc
	global_load_dwordx2 v[51:52], v[51:52], off offset:176
	v_add_co_u32_e32 v53, vcc, s0, v1
	global_load_dwordx2 v[8:9], v[8:9], off offset:432
	v_addc_co_u32_e32 v54, vcc, 0, v32, vcc
	global_load_dwordx2 v[55:56], v[53:54], off offset:2992
	global_load_dwordx2 v[57:58], v[53:54], off offset:1712
	ds_read_b32 v1, v37 offset:12160
	ds_read2st64_b32 v[59:60], v28 offset0:17 offset1:22
	ds_read_b32 v32, v41
	global_load_dwordx2 v[53:54], v[53:54], off offset:432
	ds_read2_b32 v[41:42], v42 offset0:32 offset1:192
	ds_read2st64_b32 v[66:67], v37 offset0:5 offset1:10
	ds_read2_b32 v[69:70], v38 offset0:32 offset1:192
	s_waitcnt vmcnt(9) lgkmcnt(5)
	v_mul_f32_e32 v36, v43, v1
	v_fmac_f32_e32 v36, v30, v44
	v_mul_f32_e32 v1, v44, v1
	s_waitcnt lgkmcnt(4)
	v_sub_f32_e32 v61, v60, v36
	v_fma_f32 v1, v30, v43, -v1
	v_fma_f32 v63, v60, 2.0, -v61
	v_sub_f32_e32 v60, v25, v1
	v_fma_f32 v62, v25, 2.0, -v60
	s_waitcnt vmcnt(8) lgkmcnt(2)
	v_mul_f32_e32 v1, v45, v42
	v_fmac_f32_e32 v1, v27, v46
	v_sub_f32_e32 v43, v32, v1
	v_mul_f32_e32 v1, v46, v42
	v_fma_f32 v1, v27, v45, -v1
	v_sub_f32_e32 v42, v29, v1
	s_waitcnt vmcnt(7)
	v_mul_f32_e32 v1, v47, v41
	v_fmac_f32_e32 v1, v26, v48
	v_sub_f32_e32 v27, v59, v1
	v_mul_f32_e32 v1, v48, v41
	ds_read2_b32 v[40:41], v40 offset0:32 offset1:192
	ds_read2st64_b32 v[44:45], v37 offset0:15 offset1:25
	v_fma_f32 v1, v26, v47, -v1
	v_sub_f32_e32 v26, v24, v1
	ds_read2_b32 v[37:38], v37 offset1:160
	v_fma_f32 v25, v59, 2.0, -v27
	v_fma_f32 v24, v24, 2.0, -v26
	;; [unrolled: 1-line block ×4, first 2 shown]
	s_waitcnt vmcnt(6) lgkmcnt(2)
	v_mul_f32_e32 v1, v4, v41
	v_fmac_f32_e32 v1, v23, v5
	s_waitcnt lgkmcnt(1)
	v_sub_f32_e32 v47, v44, v1
	v_mul_f32_e32 v1, v5, v41
	v_fma_f32 v1, v23, v4, -v1
	ds_read2st64_b32 v[4:5], v28 offset0:7 offset1:12
	v_sub_f32_e32 v46, v12, v1
	s_waitcnt vmcnt(5)
	v_mul_f32_e32 v1, v34, v40
	v_fmac_f32_e32 v1, v22, v35
	v_fma_f32 v64, v12, 2.0, -v46
	s_waitcnt lgkmcnt(0)
	v_sub_f32_e32 v23, v5, v1
	v_mul_f32_e32 v1, v35, v40
	ds_read2_b32 v[39:40], v39 offset0:32 offset1:192
	v_fma_f32 v1, v22, v34, -v1
	v_sub_f32_e32 v22, v19, v1
	v_fma_f32 v36, v5, 2.0, -v23
	v_fma_f32 v65, v44, 2.0, -v47
	;; [unrolled: 1-line block ×3, first 2 shown]
	s_waitcnt vmcnt(3) lgkmcnt(0)
	v_mul_f32_e32 v1, v8, v40
	v_fmac_f32_e32 v1, v21, v9
	v_sub_f32_e32 v41, v67, v1
	v_mul_f32_e32 v1, v9, v40
	v_fma_f32 v1, v21, v8, -v1
	v_sub_f32_e32 v40, v17, v1
	v_mul_f32_e32 v1, v51, v39
	v_fmac_f32_e32 v1, v20, v52
	v_sub_f32_e32 v5, v4, v1
	v_mul_f32_e32 v1, v52, v39
	v_fma_f32 v1, v20, v51, -v1
	v_fma_f32 v9, v4, 2.0, -v5
	v_sub_f32_e32 v4, v18, v1
	s_waitcnt vmcnt(2)
	v_mul_f32_e32 v1, v55, v70
	v_fmac_f32_e32 v1, v15, v56
	v_fma_f32 v8, v18, 2.0, -v4
	v_sub_f32_e32 v18, v66, v1
	v_mul_f32_e32 v1, v56, v70
	v_fma_f32 v1, v15, v55, -v1
	v_fma_f32 v68, v67, 2.0, -v41
	v_fma_f32 v67, v17, 2.0, -v40
	v_sub_f32_e32 v17, v16, v1
	s_waitcnt vmcnt(1)
	v_mul_f32_e32 v1, v57, v69
	v_fmac_f32_e32 v1, v14, v58
	v_sub_f32_e32 v15, v38, v1
	v_mul_f32_e32 v1, v58, v69
	v_fma_f32 v1, v14, v57, -v1
	v_sub_f32_e32 v14, v11, v1
	s_waitcnt vmcnt(0)
	v_mul_f32_e32 v1, v53, v45
	v_fmac_f32_e32 v1, v13, v54
	v_fma_f32 v12, v38, 2.0, -v15
	v_sub_f32_e32 v38, v37, v1
	v_mul_f32_e32 v1, v54, v45
	v_fma_f32 v1, v13, v53, -v1
	v_fma_f32 v52, v37, 2.0, -v38
	v_sub_f32_e32 v37, v10, v1
	v_fma_f32 v51, v10, 2.0, -v37
	v_mov_b32_e32 v1, s3
	v_add_co_u32_e32 v10, vcc, s2, v2
	v_addc_co_u32_e32 v13, vcc, v1, v3, vcc
	v_add_co_u32_e32 v1, vcc, v10, v49
	v_addc_co_u32_e32 v2, vcc, v13, v50, vcc
	;; [unrolled: 2-line block ×3, first 2 shown]
	v_fma_f32 v20, v66, 2.0, -v18
	v_fma_f32 v19, v16, 2.0, -v17
	;; [unrolled: 1-line block ×3, first 2 shown]
	global_store_dwordx2 v[1:2], v[51:52], off
	global_store_dwordx2 v[44:45], v[37:38], off offset:512
	global_store_dwordx2 v[1:2], v[11:12], off offset:1280
	;; [unrolled: 1-line block ×6, first 2 shown]
	v_add_co_u32_e32 v8, vcc, s1, v1
	v_addc_co_u32_e32 v9, vcc, 0, v2, vcc
	s_mov_b32 s1, 0x51eb851f
	global_store_dwordx2 v[8:9], v[4:5], off offset:256
	v_mul_hi_u32 v5, v33, s1
	v_add_co_u32_e32 v3, vcc, s4, v1
	v_addc_co_u32_e32 v4, vcc, 0, v2, vcc
	global_store_dwordx2 v[3:4], v[67:68], off offset:1024
	global_store_dwordx2 v[8:9], v[40:41], off offset:1536
	v_lshrrev_b32_e32 v3, 9, v5
	v_mad_u32_u24 v3, v3, s5, v33
	v_mov_b32_e32 v4, v7
	v_lshlrev_b64 v[3:4], 3, v[3:4]
	v_mul_hi_u32 v5, v31, s1
	v_add_co_u32_e32 v3, vcc, v10, v3
	v_addc_co_u32_e32 v4, vcc, v13, v4, vcc
	global_store_dwordx2 v[3:4], v[35:36], off
	v_add_co_u32_e32 v3, vcc, s0, v3
	v_addc_co_u32_e32 v4, vcc, 0, v4, vcc
	global_store_dwordx2 v[3:4], v[22:23], off offset:512
	v_lshrrev_b32_e32 v3, 9, v5
	v_mad_u32_u24 v3, v3, s5, v31
	v_mov_b32_e32 v4, v7
	v_lshlrev_b64 v[3:4], 3, v[3:4]
	v_add_co_u32_e32 v3, vcc, v10, v3
	v_addc_co_u32_e32 v4, vcc, v13, v4, vcc
	global_store_dwordx2 v[3:4], v[64:65], off
	v_add_co_u32_e32 v3, vcc, s0, v3
	v_addc_co_u32_e32 v4, vcc, 0, v4, vcc
	global_store_dwordx2 v[3:4], v[46:47], off offset:512
	v_add_co_u32_e32 v3, vcc, s6, v1
	v_addc_co_u32_e32 v4, vcc, 0, v2, vcc
	global_store_dwordx2 v[3:4], v[24:25], off offset:768
	v_or_b32_e32 v3, 0x500, v0
	v_mul_hi_u32 v0, v6, s1
	s_movk_i32 s0, 0x5000
	v_mov_b32_e32 v4, v7
	v_add_co_u32_e32 v1, vcc, s0, v1
	v_lshlrev_b64 v[3:4], 3, v[3:4]
	v_addc_co_u32_e32 v2, vcc, 0, v2, vcc
	v_add_co_u32_e32 v3, vcc, v10, v3
	v_lshrrev_b32_e32 v0, 9, v0
	v_addc_co_u32_e32 v4, vcc, v13, v4, vcc
	v_mad_u32_u24 v6, v0, s5, v6
	global_store_dwordx2 v[1:2], v[26:27], off offset:1280
	global_store_dwordx2 v[3:4], v[29:30], off
	global_store_dwordx2 v[1:2], v[42:43], off offset:2560
	v_lshlrev_b64 v[0:1], 3, v[6:7]
	v_add_co_u32_e32 v0, vcc, v10, v0
	v_addc_co_u32_e32 v1, vcc, v13, v1, vcc
	global_store_dwordx2 v[0:1], v[62:63], off
	v_add_co_u32_e32 v0, vcc, 0x3000, v0
	v_addc_co_u32_e32 v1, vcc, 0, v1, vcc
	global_store_dwordx2 v[0:1], v[60:61], off offset:512
.LBB0_15:
	s_endpgm
	.section	.rodata,"a",@progbits
	.p2align	6, 0x0
	.amdhsa_kernel fft_rtc_fwd_len3200_factors_10_10_4_4_2_wgs_160_tpt_160_halfLds_sp_ip_CI_unitstride_sbrr_dirReg
		.amdhsa_group_segment_fixed_size 0
		.amdhsa_private_segment_fixed_size 0
		.amdhsa_kernarg_size 88
		.amdhsa_user_sgpr_count 6
		.amdhsa_user_sgpr_private_segment_buffer 1
		.amdhsa_user_sgpr_dispatch_ptr 0
		.amdhsa_user_sgpr_queue_ptr 0
		.amdhsa_user_sgpr_kernarg_segment_ptr 1
		.amdhsa_user_sgpr_dispatch_id 0
		.amdhsa_user_sgpr_flat_scratch_init 0
		.amdhsa_user_sgpr_private_segment_size 0
		.amdhsa_uses_dynamic_stack 0
		.amdhsa_system_sgpr_private_segment_wavefront_offset 0
		.amdhsa_system_sgpr_workgroup_id_x 1
		.amdhsa_system_sgpr_workgroup_id_y 0
		.amdhsa_system_sgpr_workgroup_id_z 0
		.amdhsa_system_sgpr_workgroup_info 0
		.amdhsa_system_vgpr_workitem_id 0
		.amdhsa_next_free_vgpr 83
		.amdhsa_next_free_sgpr 22
		.amdhsa_reserve_vcc 1
		.amdhsa_reserve_flat_scratch 0
		.amdhsa_float_round_mode_32 0
		.amdhsa_float_round_mode_16_64 0
		.amdhsa_float_denorm_mode_32 3
		.amdhsa_float_denorm_mode_16_64 3
		.amdhsa_dx10_clamp 1
		.amdhsa_ieee_mode 1
		.amdhsa_fp16_overflow 0
		.amdhsa_exception_fp_ieee_invalid_op 0
		.amdhsa_exception_fp_denorm_src 0
		.amdhsa_exception_fp_ieee_div_zero 0
		.amdhsa_exception_fp_ieee_overflow 0
		.amdhsa_exception_fp_ieee_underflow 0
		.amdhsa_exception_fp_ieee_inexact 0
		.amdhsa_exception_int_div_zero 0
	.end_amdhsa_kernel
	.text
.Lfunc_end0:
	.size	fft_rtc_fwd_len3200_factors_10_10_4_4_2_wgs_160_tpt_160_halfLds_sp_ip_CI_unitstride_sbrr_dirReg, .Lfunc_end0-fft_rtc_fwd_len3200_factors_10_10_4_4_2_wgs_160_tpt_160_halfLds_sp_ip_CI_unitstride_sbrr_dirReg
                                        ; -- End function
	.section	.AMDGPU.csdata,"",@progbits
; Kernel info:
; codeLenInByte = 10924
; NumSgprs: 26
; NumVgprs: 83
; ScratchSize: 0
; MemoryBound: 0
; FloatMode: 240
; IeeeMode: 1
; LDSByteSize: 0 bytes/workgroup (compile time only)
; SGPRBlocks: 3
; VGPRBlocks: 20
; NumSGPRsForWavesPerEU: 26
; NumVGPRsForWavesPerEU: 83
; Occupancy: 3
; WaveLimiterHint : 1
; COMPUTE_PGM_RSRC2:SCRATCH_EN: 0
; COMPUTE_PGM_RSRC2:USER_SGPR: 6
; COMPUTE_PGM_RSRC2:TRAP_HANDLER: 0
; COMPUTE_PGM_RSRC2:TGID_X_EN: 1
; COMPUTE_PGM_RSRC2:TGID_Y_EN: 0
; COMPUTE_PGM_RSRC2:TGID_Z_EN: 0
; COMPUTE_PGM_RSRC2:TIDIG_COMP_CNT: 0
	.type	__hip_cuid_2ba7ea3755870941,@object ; @__hip_cuid_2ba7ea3755870941
	.section	.bss,"aw",@nobits
	.globl	__hip_cuid_2ba7ea3755870941
__hip_cuid_2ba7ea3755870941:
	.byte	0                               ; 0x0
	.size	__hip_cuid_2ba7ea3755870941, 1

	.ident	"AMD clang version 19.0.0git (https://github.com/RadeonOpenCompute/llvm-project roc-6.4.0 25133 c7fe45cf4b819c5991fe208aaa96edf142730f1d)"
	.section	".note.GNU-stack","",@progbits
	.addrsig
	.addrsig_sym __hip_cuid_2ba7ea3755870941
	.amdgpu_metadata
---
amdhsa.kernels:
  - .args:
      - .actual_access:  read_only
        .address_space:  global
        .offset:         0
        .size:           8
        .value_kind:     global_buffer
      - .offset:         8
        .size:           8
        .value_kind:     by_value
      - .actual_access:  read_only
        .address_space:  global
        .offset:         16
        .size:           8
        .value_kind:     global_buffer
      - .actual_access:  read_only
        .address_space:  global
        .offset:         24
        .size:           8
        .value_kind:     global_buffer
      - .offset:         32
        .size:           8
        .value_kind:     by_value
      - .actual_access:  read_only
        .address_space:  global
        .offset:         40
        .size:           8
        .value_kind:     global_buffer
      - .actual_access:  read_only
        .address_space:  global
        .offset:         48
        .size:           8
        .value_kind:     global_buffer
      - .offset:         56
        .size:           4
        .value_kind:     by_value
      - .actual_access:  read_only
        .address_space:  global
        .offset:         64
        .size:           8
        .value_kind:     global_buffer
      - .actual_access:  read_only
        .address_space:  global
        .offset:         72
        .size:           8
        .value_kind:     global_buffer
      - .address_space:  global
        .offset:         80
        .size:           8
        .value_kind:     global_buffer
    .group_segment_fixed_size: 0
    .kernarg_segment_align: 8
    .kernarg_segment_size: 88
    .language:       OpenCL C
    .language_version:
      - 2
      - 0
    .max_flat_workgroup_size: 160
    .name:           fft_rtc_fwd_len3200_factors_10_10_4_4_2_wgs_160_tpt_160_halfLds_sp_ip_CI_unitstride_sbrr_dirReg
    .private_segment_fixed_size: 0
    .sgpr_count:     26
    .sgpr_spill_count: 0
    .symbol:         fft_rtc_fwd_len3200_factors_10_10_4_4_2_wgs_160_tpt_160_halfLds_sp_ip_CI_unitstride_sbrr_dirReg.kd
    .uniform_work_group_size: 1
    .uses_dynamic_stack: false
    .vgpr_count:     83
    .vgpr_spill_count: 0
    .wavefront_size: 64
amdhsa.target:   amdgcn-amd-amdhsa--gfx906
amdhsa.version:
  - 1
  - 2
...

	.end_amdgpu_metadata
